;; amdgpu-corpus repo=ROCm/rocFFT kind=compiled arch=gfx950 opt=O3
	.text
	.amdgcn_target "amdgcn-amd-amdhsa--gfx950"
	.amdhsa_code_object_version 6
	.protected	fft_rtc_fwd_len1352_factors_2_13_13_4_wgs_52_tpt_52_halfLds_dp_op_CI_CI_sbrr_dirReg ; -- Begin function fft_rtc_fwd_len1352_factors_2_13_13_4_wgs_52_tpt_52_halfLds_dp_op_CI_CI_sbrr_dirReg
	.globl	fft_rtc_fwd_len1352_factors_2_13_13_4_wgs_52_tpt_52_halfLds_dp_op_CI_CI_sbrr_dirReg
	.p2align	8
	.type	fft_rtc_fwd_len1352_factors_2_13_13_4_wgs_52_tpt_52_halfLds_dp_op_CI_CI_sbrr_dirReg,@function
fft_rtc_fwd_len1352_factors_2_13_13_4_wgs_52_tpt_52_halfLds_dp_op_CI_CI_sbrr_dirReg: ; @fft_rtc_fwd_len1352_factors_2_13_13_4_wgs_52_tpt_52_halfLds_dp_op_CI_CI_sbrr_dirReg
; %bb.0:
	s_load_dwordx4 s[12:15], s[0:1], 0x18
	s_load_dwordx4 s[4:7], s[0:1], 0x0
	;; [unrolled: 1-line block ×3, first 2 shown]
	v_mul_u32_u24_e32 v1, 0x4ed, v0
	v_add_u32_sdwa v4, s2, v1 dst_sel:DWORD dst_unused:UNUSED_PAD src0_sel:DWORD src1_sel:WORD_1
	s_waitcnt lgkmcnt(0)
	s_load_dwordx2 s[18:19], s[12:13], 0x0
	s_load_dwordx2 s[16:17], s[14:15], 0x0
	v_mov_b32_e32 v2, 0
	v_cmp_lt_u64_e64 s[2:3], s[6:7], 2
	v_mov_b32_e32 v5, v2
	s_and_b64 vcc, exec, s[2:3]
	v_mov_b64_e32 v[6:7], 0
	s_cbranch_vccnz .LBB0_8
; %bb.1:
	s_load_dwordx2 s[2:3], s[0:1], 0x10
	s_add_u32 s20, s14, 8
	s_addc_u32 s21, s15, 0
	s_add_u32 s22, s12, 8
	s_addc_u32 s23, s13, 0
	s_waitcnt lgkmcnt(0)
	s_add_u32 s24, s2, 8
	v_mov_b64_e32 v[6:7], 0
	s_addc_u32 s25, s3, 0
	s_mov_b64 s[26:27], 1
	v_mov_b64_e32 v[128:129], v[6:7]
.LBB0_2:                                ; =>This Inner Loop Header: Depth=1
	s_load_dwordx2 s[28:29], s[24:25], 0x0
                                        ; implicit-def: $vgpr130_vgpr131
	s_waitcnt lgkmcnt(0)
	v_or_b32_e32 v3, s29, v5
	v_cmp_ne_u64_e32 vcc, 0, v[2:3]
	s_and_saveexec_b64 s[2:3], vcc
	s_xor_b64 s[30:31], exec, s[2:3]
	s_cbranch_execz .LBB0_4
; %bb.3:                                ;   in Loop: Header=BB0_2 Depth=1
	v_cvt_f32_u32_e32 v1, s28
	v_cvt_f32_u32_e32 v3, s29
	s_sub_u32 s2, 0, s28
	s_subb_u32 s3, 0, s29
	v_fmac_f32_e32 v1, 0x4f800000, v3
	v_rcp_f32_e32 v1, v1
	s_nop 0
	v_mul_f32_e32 v1, 0x5f7ffffc, v1
	v_mul_f32_e32 v3, 0x2f800000, v1
	v_trunc_f32_e32 v3, v3
	v_fmac_f32_e32 v1, 0xcf800000, v3
	v_cvt_u32_f32_e32 v3, v3
	v_cvt_u32_f32_e32 v1, v1
	v_mul_lo_u32 v8, s2, v3
	v_mul_hi_u32 v10, s2, v1
	v_mul_lo_u32 v9, s3, v1
	v_add_u32_e32 v10, v10, v8
	v_mul_lo_u32 v12, s2, v1
	v_add_u32_e32 v13, v10, v9
	v_mul_hi_u32 v8, v1, v12
	v_mul_hi_u32 v11, v1, v13
	v_mul_lo_u32 v10, v1, v13
	v_mov_b32_e32 v9, v2
	v_lshl_add_u64 v[8:9], v[8:9], 0, v[10:11]
	v_mul_hi_u32 v11, v3, v12
	v_mul_lo_u32 v12, v3, v12
	v_add_co_u32_e32 v8, vcc, v8, v12
	v_mul_hi_u32 v10, v3, v13
	s_nop 0
	v_addc_co_u32_e32 v8, vcc, v9, v11, vcc
	v_mov_b32_e32 v9, v2
	s_nop 0
	v_addc_co_u32_e32 v11, vcc, 0, v10, vcc
	v_mul_lo_u32 v10, v3, v13
	v_lshl_add_u64 v[8:9], v[8:9], 0, v[10:11]
	v_add_co_u32_e32 v1, vcc, v1, v8
	v_mul_lo_u32 v10, s2, v1
	s_nop 0
	v_addc_co_u32_e32 v3, vcc, v3, v9, vcc
	v_mul_lo_u32 v8, s2, v3
	v_mul_hi_u32 v9, s2, v1
	v_add_u32_e32 v8, v9, v8
	v_mul_lo_u32 v9, s3, v1
	v_add_u32_e32 v12, v8, v9
	v_mul_hi_u32 v14, v3, v10
	v_mul_lo_u32 v15, v3, v10
	v_mul_hi_u32 v9, v1, v12
	v_mul_lo_u32 v8, v1, v12
	v_mul_hi_u32 v10, v1, v10
	v_mov_b32_e32 v11, v2
	v_lshl_add_u64 v[8:9], v[10:11], 0, v[8:9]
	v_add_co_u32_e32 v8, vcc, v8, v15
	v_mul_hi_u32 v13, v3, v12
	s_nop 0
	v_addc_co_u32_e32 v8, vcc, v9, v14, vcc
	v_mul_lo_u32 v10, v3, v12
	s_nop 0
	v_addc_co_u32_e32 v11, vcc, 0, v13, vcc
	v_mov_b32_e32 v9, v2
	v_lshl_add_u64 v[8:9], v[8:9], 0, v[10:11]
	v_add_co_u32_e32 v1, vcc, v1, v8
	v_mul_hi_u32 v10, v4, v1
	s_nop 0
	v_addc_co_u32_e32 v3, vcc, v3, v9, vcc
	v_mad_u64_u32 v[8:9], s[2:3], v4, v3, 0
	v_mov_b32_e32 v11, v2
	v_lshl_add_u64 v[8:9], v[10:11], 0, v[8:9]
	v_mad_u64_u32 v[12:13], s[2:3], v5, v1, 0
	v_add_co_u32_e32 v1, vcc, v8, v12
	v_mad_u64_u32 v[10:11], s[2:3], v5, v3, 0
	s_nop 0
	v_addc_co_u32_e32 v8, vcc, v9, v13, vcc
	v_mov_b32_e32 v9, v2
	s_nop 0
	v_addc_co_u32_e32 v11, vcc, 0, v11, vcc
	v_lshl_add_u64 v[8:9], v[8:9], 0, v[10:11]
	v_mul_lo_u32 v1, s29, v8
	v_mul_lo_u32 v3, s28, v9
	v_mad_u64_u32 v[10:11], s[2:3], s28, v8, 0
	v_add3_u32 v1, v11, v3, v1
	v_sub_u32_e32 v3, v5, v1
	v_mov_b32_e32 v11, s29
	v_sub_co_u32_e32 v14, vcc, v4, v10
	v_lshl_add_u64 v[12:13], v[8:9], 0, 1
	s_nop 0
	v_subb_co_u32_e64 v3, s[2:3], v3, v11, vcc
	v_subrev_co_u32_e64 v10, s[2:3], s28, v14
	v_subb_co_u32_e32 v1, vcc, v5, v1, vcc
	s_nop 0
	v_subbrev_co_u32_e64 v3, s[2:3], 0, v3, s[2:3]
	v_cmp_le_u32_e64 s[2:3], s29, v3
	v_cmp_le_u32_e32 vcc, s29, v1
	s_nop 0
	v_cndmask_b32_e64 v11, 0, -1, s[2:3]
	v_cmp_le_u32_e64 s[2:3], s28, v10
	s_nop 1
	v_cndmask_b32_e64 v10, 0, -1, s[2:3]
	v_cmp_eq_u32_e64 s[2:3], s29, v3
	s_nop 1
	v_cndmask_b32_e64 v3, v11, v10, s[2:3]
	v_lshl_add_u64 v[10:11], v[8:9], 0, 2
	v_cmp_ne_u32_e64 s[2:3], 0, v3
	s_nop 1
	v_cndmask_b32_e64 v3, v13, v11, s[2:3]
	v_cndmask_b32_e64 v11, 0, -1, vcc
	v_cmp_le_u32_e32 vcc, s28, v14
	s_nop 1
	v_cndmask_b32_e64 v13, 0, -1, vcc
	v_cmp_eq_u32_e32 vcc, s29, v1
	s_nop 1
	v_cndmask_b32_e32 v1, v11, v13, vcc
	v_cmp_ne_u32_e32 vcc, 0, v1
	v_cndmask_b32_e64 v1, v12, v10, s[2:3]
	s_nop 0
	v_cndmask_b32_e32 v131, v9, v3, vcc
	v_cndmask_b32_e32 v130, v8, v1, vcc
.LBB0_4:                                ;   in Loop: Header=BB0_2 Depth=1
	s_andn2_saveexec_b64 s[2:3], s[30:31]
	s_cbranch_execz .LBB0_6
; %bb.5:                                ;   in Loop: Header=BB0_2 Depth=1
	v_cvt_f32_u32_e32 v1, s28
	s_sub_i32 s30, 0, s28
	v_mov_b32_e32 v131, v2
	v_rcp_iflag_f32_e32 v1, v1
	s_nop 0
	v_mul_f32_e32 v1, 0x4f7ffffe, v1
	v_cvt_u32_f32_e32 v1, v1
	v_mul_lo_u32 v3, s30, v1
	v_mul_hi_u32 v3, v1, v3
	v_add_u32_e32 v1, v1, v3
	v_mul_hi_u32 v1, v4, v1
	v_mul_lo_u32 v3, v1, s28
	v_sub_u32_e32 v3, v4, v3
	v_add_u32_e32 v8, 1, v1
	v_subrev_u32_e32 v9, s28, v3
	v_cmp_le_u32_e32 vcc, s28, v3
	s_nop 1
	v_cndmask_b32_e32 v3, v3, v9, vcc
	v_cndmask_b32_e32 v1, v1, v8, vcc
	v_add_u32_e32 v8, 1, v1
	v_cmp_le_u32_e32 vcc, s28, v3
	s_nop 1
	v_cndmask_b32_e32 v130, v1, v8, vcc
.LBB0_6:                                ;   in Loop: Header=BB0_2 Depth=1
	s_or_b64 exec, exec, s[2:3]
	v_mad_u64_u32 v[8:9], s[2:3], v130, s28, 0
	s_load_dwordx2 s[2:3], s[22:23], 0x0
	v_mul_lo_u32 v1, v131, s28
	v_mul_lo_u32 v3, v130, s29
	s_load_dwordx2 s[28:29], s[20:21], 0x0
	s_add_u32 s26, s26, 1
	v_add3_u32 v1, v9, v3, v1
	v_sub_co_u32_e32 v3, vcc, v4, v8
	s_addc_u32 s27, s27, 0
	s_nop 0
	v_subb_co_u32_e32 v1, vcc, v5, v1, vcc
	s_add_u32 s20, s20, 8
	s_waitcnt lgkmcnt(0)
	v_mul_lo_u32 v4, s2, v1
	v_mul_lo_u32 v5, s3, v3
	v_mad_u64_u32 v[6:7], s[2:3], s2, v3, v[6:7]
	s_addc_u32 s21, s21, 0
	v_add3_u32 v7, v5, v7, v4
	v_mul_lo_u32 v1, s28, v1
	v_mul_lo_u32 v4, s29, v3
	v_mad_u64_u32 v[128:129], s[2:3], s28, v3, v[128:129]
	s_add_u32 s22, s22, 8
	v_add3_u32 v129, v4, v129, v1
	s_addc_u32 s23, s23, 0
	v_mov_b64_e32 v[4:5], s[6:7]
	s_add_u32 s24, s24, 8
	v_cmp_ge_u64_e32 vcc, s[26:27], v[4:5]
	s_addc_u32 s25, s25, 0
	s_cbranch_vccnz .LBB0_9
; %bb.7:                                ;   in Loop: Header=BB0_2 Depth=1
	v_mov_b64_e32 v[4:5], v[130:131]
	s_branch .LBB0_2
.LBB0_8:
	v_mov_b64_e32 v[128:129], v[6:7]
	v_mov_b64_e32 v[130:131], v[4:5]
.LBB0_9:
	s_load_dwordx2 s[0:1], s[0:1], 0x28
	s_lshl_b64 s[6:7], s[6:7], 3
	s_add_u32 s2, s14, s6
	s_addc_u32 s3, s15, s7
                                        ; implicit-def: $vgpr180
                                        ; implicit-def: $vgpr181
                                        ; implicit-def: $vgpr182
                                        ; implicit-def: $vgpr183
                                        ; implicit-def: $vgpr184
                                        ; implicit-def: $vgpr185
                                        ; implicit-def: $vgpr186
                                        ; implicit-def: $vgpr26
                                        ; implicit-def: $vgpr27
                                        ; implicit-def: $vgpr28
	s_waitcnt lgkmcnt(0)
	v_cmp_gt_u64_e32 vcc, s[0:1], v[130:131]
	v_cmp_le_u64_e64 s[0:1], s[0:1], v[130:131]
	s_and_saveexec_b64 s[14:15], s[0:1]
	s_xor_b64 s[0:1], exec, s[14:15]
	s_cbranch_execz .LBB0_11
; %bb.10:
	s_mov_b32 s14, 0x4ec4ec5
	v_mul_hi_u32 v1, v0, s14
	v_mul_u32_u24_e32 v1, 52, v1
	v_sub_u32_e32 v180, v0, v1
	v_add_u32_e32 v181, 52, v180
	v_add_u32_e32 v182, 0x68, v180
	;; [unrolled: 1-line block ×9, first 2 shown]
                                        ; implicit-def: $vgpr0
                                        ; implicit-def: $vgpr6_vgpr7
.LBB0_11:
	s_or_saveexec_b64 s[0:1], s[0:1]
                                        ; implicit-def: $vgpr16_vgpr17
                                        ; implicit-def: $vgpr12_vgpr13
                                        ; implicit-def: $vgpr52_vgpr53
                                        ; implicit-def: $vgpr48_vgpr49
                                        ; implicit-def: $vgpr8_vgpr9
                                        ; implicit-def: $vgpr4_vgpr5
                                        ; implicit-def: $vgpr44_vgpr45
                                        ; implicit-def: $vgpr40_vgpr41
                                        ; implicit-def: $vgpr74_vgpr75
                                        ; implicit-def: $vgpr70_vgpr71
                                        ; implicit-def: $vgpr82_vgpr83
                                        ; implicit-def: $vgpr78_vgpr79
                                        ; implicit-def: $vgpr114_vgpr115
                                        ; implicit-def: $vgpr110_vgpr111
                                        ; implicit-def: $vgpr118_vgpr119
                                        ; implicit-def: $vgpr86_vgpr87
                                        ; implicit-def: $vgpr98_vgpr99
                                        ; implicit-def: $vgpr90_vgpr91
                                        ; implicit-def: $vgpr106_vgpr107
                                        ; implicit-def: $vgpr56_vgpr57
                                        ; implicit-def: $vgpr64_vgpr65
                                        ; implicit-def: $vgpr60_vgpr61
                                        ; implicit-def: $vgpr102_vgpr103
                                        ; implicit-def: $vgpr94_vgpr95
                                        ; implicit-def: $vgpr20_vgpr21
                                        ; implicit-def: $vgpr24_vgpr25
	s_xor_b64 exec, exec, s[0:1]
	s_cbranch_execz .LBB0_13
; %bb.12:
	s_add_u32 s6, s12, s6
	s_addc_u32 s7, s13, s7
	s_load_dwordx2 s[6:7], s[6:7], 0x0
	s_mov_b32 s12, 0x4ec4ec5
	s_waitcnt lgkmcnt(0)
	v_mul_lo_u32 v1, s7, v130
	v_mul_lo_u32 v2, s6, v131
	v_mad_u64_u32 v[4:5], s[6:7], s6, v130, 0
	v_add3_u32 v5, v5, v2, v1
	v_mul_hi_u32 v1, v0, s12
	v_mul_u32_u24_e32 v1, 52, v1
	v_sub_u32_e32 v180, v0, v1
	v_mad_u64_u32 v[2:3], s[6:7], s18, v180, 0
	v_mov_b32_e32 v0, v3
	v_mad_u64_u32 v[0:1], s[6:7], s19, v180, v[0:1]
	v_mov_b32_e32 v3, v0
	v_lshl_add_u64 v[0:1], v[4:5], 4, s[8:9]
	v_lshl_add_u64 v[0:1], v[6:7], 4, v[0:1]
	v_add_u32_e32 v7, 0x2a4, v180
	v_mad_u64_u32 v[4:5], s[6:7], s18, v7, 0
	v_mov_b32_e32 v6, v5
	v_mad_u64_u32 v[6:7], s[6:7], s19, v7, v[6:7]
	v_add_u32_e32 v181, 52, v180
	v_mov_b32_e32 v5, v6
	v_mad_u64_u32 v[6:7], s[6:7], s18, v181, 0
	v_mov_b32_e32 v8, v7
	v_mad_u64_u32 v[8:9], s[6:7], s19, v181, v[8:9]
	v_add_u32_e32 v11, 0x2d8, v180
	v_mov_b32_e32 v7, v8
	;; [unrolled: 5-line block ×5, first 2 shown]
	v_mad_u64_u32 v[14:15], s[6:7], s18, v183, 0
	v_mov_b32_e32 v16, v15
	v_mad_u64_u32 v[16:17], s[6:7], s19, v183, v[16:17]
	v_or_b32_e32 v19, 0x340, v180
	v_mov_b32_e32 v15, v16
	v_mad_u64_u32 v[16:17], s[6:7], s18, v19, 0
	v_mov_b32_e32 v18, v17
	v_mad_u64_u32 v[18:19], s[6:7], s19, v19, v[18:19]
	v_add_u32_e32 v184, 0xd0, v180
	v_mov_b32_e32 v17, v18
	v_mad_u64_u32 v[18:19], s[6:7], s18, v184, 0
	v_mov_b32_e32 v20, v19
	v_mad_u64_u32 v[20:21], s[6:7], s19, v184, v[20:21]
	v_add_u32_e32 v23, 0x374, v180
	;; [unrolled: 5-line block ×4, first 2 shown]
	v_mov_b32_e32 v23, v24
	v_mad_u64_u32 v[24:25], s[6:7], s18, v27, 0
	v_mov_b32_e32 v26, v25
	v_add_u32_e32 v186, 0x138, v180
	v_mad_u64_u32 v[26:27], s[6:7], s19, v27, v[26:27]
	v_mad_u64_u32 v[30:31], s[6:7], s18, v186, 0
	v_mov_b32_e32 v25, v26
	v_mov_b32_e32 v26, v31
	v_mad_u64_u32 v[26:27], s[6:7], s19, v186, v[26:27]
	v_add_u32_e32 v27, 0x3dc, v180
	v_mad_u64_u32 v[32:33], s[6:7], s18, v27, 0
	v_mov_b32_e32 v31, v26
	v_mov_b32_e32 v26, v33
	v_mad_u64_u32 v[26:27], s[6:7], s19, v27, v[26:27]
	v_add_u32_e32 v27, 0x16c, v180
	v_mad_u64_u32 v[34:35], s[6:7], s18, v27, 0
	v_mov_b32_e32 v33, v26
	v_mov_b32_e32 v26, v35
	v_mad_u64_u32 v[26:27], s[6:7], s19, v27, v[26:27]
	v_add_u32_e32 v27, 0x410, v180
	v_mad_u64_u32 v[36:37], s[6:7], s18, v27, 0
	v_mov_b32_e32 v35, v26
	v_mov_b32_e32 v26, v37
	v_mad_u64_u32 v[26:27], s[6:7], s19, v27, v[26:27]
	v_mov_b32_e32 v37, v26
	v_add_u32_e32 v26, 0x1a0, v180
	v_mad_u64_u32 v[38:39], s[6:7], s18, v26, 0
	v_mov_b32_e32 v28, v39
	v_add_u32_e32 v27, 0x444, v180
	v_mad_u64_u32 v[28:29], s[6:7], s19, v26, v[28:29]
	v_mad_u64_u32 v[40:41], s[6:7], s18, v27, 0
	v_mov_b32_e32 v39, v28
	v_mov_b32_e32 v28, v41
	v_mad_u64_u32 v[28:29], s[6:7], s19, v27, v[28:29]
	v_add_u32_e32 v27, 0x1d4, v180
	v_mad_u64_u32 v[42:43], s[6:7], s18, v27, 0
	v_mov_b32_e32 v41, v28
	v_mov_b32_e32 v28, v43
	v_mad_u64_u32 v[28:29], s[6:7], s19, v27, v[28:29]
	v_add_u32_e32 v27, 0x478, v180
	;; [unrolled: 5-line block ×6, first 2 shown]
	v_mad_u64_u32 v[52:53], s[6:7], s18, v29, 0
	v_mov_b32_e32 v51, v28
	v_mov_b32_e32 v28, v53
	v_mad_u64_u32 v[28:29], s[6:7], s19, v29, v[28:29]
	v_mov_b32_e32 v53, v28
	v_add_u32_e32 v28, 0x270, v180
	v_mad_u64_u32 v[54:55], s[6:7], s18, v28, 0
	v_mov_b32_e32 v56, v55
	v_mad_u64_u32 v[56:57], s[6:7], s19, v28, v[56:57]
	v_add_u32_e32 v29, 0x514, v180
	v_mov_b32_e32 v55, v56
	v_mad_u64_u32 v[56:57], s[6:7], s18, v29, 0
	v_mov_b32_e32 v58, v57
	v_mad_u64_u32 v[58:59], s[6:7], s19, v29, v[58:59]
	v_lshl_add_u64 v[66:67], v[2:3], 4, v[0:1]
	v_lshl_add_u64 v[68:69], v[4:5], 4, v[0:1]
	;; [unrolled: 1-line block ×18, first 2 shown]
	v_mov_b32_e32 v57, v58
	v_lshl_add_u64 v[30:31], v[30:31], 4, v[0:1]
	v_lshl_add_u64 v[32:33], v[32:33], 4, v[0:1]
	v_lshl_add_u64 v[34:35], v[34:35], 4, v[0:1]
	v_lshl_add_u64 v[36:37], v[36:37], 4, v[0:1]
	v_lshl_add_u64 v[120:121], v[50:51], 4, v[0:1]
	v_lshl_add_u64 v[122:123], v[52:53], 4, v[0:1]
	v_lshl_add_u64 v[124:125], v[54:55], 4, v[0:1]
	v_lshl_add_u64 v[0:1], v[56:57], 4, v[0:1]
	global_load_dwordx4 v[22:25], v[66:67], off
	global_load_dwordx4 v[14:17], v[68:69], off
	;; [unrolled: 1-line block ×15, first 2 shown]
                                        ; kill: killed $vgpr32_vgpr33
                                        ; kill: killed $vgpr88_vgpr89
                                        ; kill: killed $vgpr84_vgpr85
                                        ; kill: killed $vgpr80_vgpr81
                                        ; kill: killed $vgpr76_vgpr77
                                        ; kill: killed $vgpr72_vgpr73
                                        ; kill: killed $vgpr30_vgpr31
                                        ; kill: killed $vgpr86_vgpr87
                                        ; kill: killed $vgpr82_vgpr83
                                        ; kill: killed $vgpr78_vgpr79
                                        ; kill: killed $vgpr74_vgpr75
                                        ; kill: killed $vgpr70_vgpr71
                                        ; kill: killed $vgpr68_vgpr69
                                        ; kill: killed $vgpr34_vgpr35
                                        ; kill: killed $vgpr66_vgpr67
	global_load_dwordx4 v[104:107], v[36:37], off
	s_nop 0
	global_load_dwordx4 v[88:91], v[108:109], off
	global_load_dwordx4 v[72:75], v[110:111], off
	;; [unrolled: 1-line block ×7, first 2 shown]
                                        ; kill: killed $vgpr116_vgpr117
                                        ; kill: killed $vgpr112_vgpr113
                                        ; kill: killed $vgpr110_vgpr111
                                        ; kill: killed $vgpr36_vgpr37
                                        ; kill: killed $vgpr120_vgpr121
                                        ; kill: killed $vgpr108_vgpr109
                                        ; kill: killed $vgpr118_vgpr119
                                        ; kill: killed $vgpr114_vgpr115
	s_nop 0
	global_load_dwordx4 v[116:119], v[122:123], off
	global_load_dwordx4 v[108:111], v[124:125], off
	;; [unrolled: 1-line block ×3, first 2 shown]
.LBB0_13:
	s_or_b64 exec, exec, s[0:1]
	s_waitcnt vmcnt(22)
	v_add_f64 v[126:127], v[12:13], -v[20:21]
	v_add_f64 v[32:33], v[22:23], -v[14:15]
	;; [unrolled: 1-line block ×4, first 2 shown]
	v_fma_f64 v[124:125], v[12:13], 2.0, -v[126:127]
	s_waitcnt vmcnt(20)
	v_add_f64 v[12:13], v[92:93], -v[50:51]
	v_fma_f64 v[30:31], v[22:23], 2.0, -v[32:33]
	v_fma_f64 v[120:121], v[24:25], 2.0, -v[122:123]
	;; [unrolled: 1-line block ×4, first 2 shown]
	s_waitcnt vmcnt(18)
	v_add_f64 v[20:21], v[46:47], -v[100:101]
	v_lshl_add_u32 v100, v180, 4, 0
	s_waitcnt vmcnt(16)
	v_add_f64 v[24:25], v[58:59], -v[6:7]
	v_lshl_add_u32 v6, v181, 4, 0
	v_lshl_add_u32 v187, v182, 4, 0
	ds_write_b128 v100, v[30:33]
	ds_write_b128 v6, v[14:17]
	ds_write_b128 v187, v[10:13]
	s_waitcnt vmcnt(14)
	v_add_f64 v[12:13], v[2:3], -v[62:63]
	v_fma_f64 v[10:11], v[2:3], 2.0, -v[12:13]
	s_waitcnt vmcnt(12)
	v_add_f64 v[2:3], v[54:55], -v[42:43]
	v_fma_f64 v[18:19], v[46:47], 2.0, -v[20:21]
	v_fma_f64 v[22:23], v[58:59], 2.0, -v[24:25]
	v_lshl_add_u32 v7, v183, 4, 0
	v_fma_f64 v[0:1], v[54:55], 2.0, -v[2:3]
	v_lshl_add_u32 v188, v184, 4, 0
	v_lshl_add_u32 v101, v185, 4, 0
	v_lshl_add_u32 v196, v186, 4, 0
	ds_write_b128 v7, v[18:21]
	ds_write_b128 v188, v[22:25]
	s_waitcnt vmcnt(10)
	v_add_f64 v[16:17], v[38:39], -v[104:105]
	ds_write_b128 v101, v[10:13]
	ds_write_b128 v196, v[0:3]
	s_waitcnt vmcnt(8)
	v_add_f64 v[2:3], v[88:89], -v[72:73]
	v_fma_f64 v[14:15], v[38:39], 2.0, -v[16:17]
	v_fma_f64 v[0:1], v[88:89], 2.0, -v[2:3]
	s_waitcnt vmcnt(6)
	v_add_f64 v[12:13], v[68:69], -v[96:97]
	v_lshl_add_u32 v132, v26, 4, 0
	ds_write_b128 v100, v[14:17] offset:5824
	v_fma_f64 v[10:11], v[68:69], 2.0, -v[12:13]
	ds_write_b128 v132, v[0:3]
	s_waitcnt vmcnt(4)
	v_add_f64 v[2:3], v[84:85], -v[80:81]
	v_fma_f64 v[0:1], v[84:85], 2.0, -v[2:3]
	ds_write_b128 v100, v[10:13] offset:7488
	s_waitcnt vmcnt(2)
	v_add_f64 v[12:13], v[76:77], -v[116:117]
	v_lshl_add_u32 v116, v27, 4, 0
	ds_write_b128 v116, v[0:3]
	s_waitcnt vmcnt(0)
	v_add_f64 v[2:3], v[108:109], -v[112:113]
	v_fma_f64 v[10:11], v[76:77], 2.0, -v[12:13]
	v_fma_f64 v[0:1], v[108:109], 2.0, -v[2:3]
	v_lshl_add_u32 v112, v28, 4, 0
	ds_write_b128 v100, v[10:13] offset:9152
	ds_write_b128 v112, v[0:3]
	v_lshlrev_b32_e32 v0, 3, v26
	v_lshlrev_b32_e32 v199, 3, v186
	v_sub_u32_e32 v203, v132, v0
	v_lshlrev_b32_e32 v0, 3, v27
	v_add_f64 v[52:53], v[94:95], -v[52:53]
	v_add_f64 v[96:97], v[48:49], -v[102:103]
	v_lshl_add_u32 v189, v180, 3, 0
	v_lshlrev_b32_e32 v197, 3, v182
	v_lshlrev_b32_e32 v198, 3, v184
	v_sub_u32_e32 v202, v196, v199
	v_sub_u32_e32 v204, v116, v0
	v_lshlrev_b32_e32 v0, 3, v28
	v_fma_f64 v[50:51], v[94:95], 2.0, -v[52:53]
	v_fma_f64 v[94:95], v[48:49], 2.0, -v[96:97]
	v_add_f64 v[8:9], v[60:61], -v[8:9]
	v_add_f64 v[48:49], v[4:5], -v[64:65]
	;; [unrolled: 1-line block ×3, first 2 shown]
	v_and_b32_e32 v207, 1, v180
	s_load_dwordx2 s[6:7], s[2:3], 0x0
	s_waitcnt lgkmcnt(0)
	; wave barrier
	s_waitcnt lgkmcnt(0)
	v_sub_u32_e32 v200, v187, v197
	v_sub_u32_e32 v201, v188, v198
	;; [unrolled: 1-line block ×3, first 2 shown]
	v_add_u32_e32 v190, 0x1000, v189
	v_add_u32_e32 v191, 0x1800, v189
	;; [unrolled: 1-line block ×4, first 2 shown]
	v_lshl_add_u32 v193, v181, 3, 0
	v_add_u32_e32 v195, 0x800, v189
	v_add_u32_e32 v206, 0xc00, v189
	ds_read_b64 v[10:11], v202
	ds_read_b64 v[88:89], v203
	;; [unrolled: 1-line block ×7, first 2 shown]
	ds_read_b64 v[104:105], v189 offset:10400
	ds_read2_b64 v[0:3], v189 offset1:156
	ds_read2_b64 v[32:35], v190 offset0:164 offset1:216
	ds_read2_b64 v[28:31], v191 offset0:12 offset1:64
	;; [unrolled: 1-line block ×8, first 2 shown]
	s_waitcnt lgkmcnt(0)
	; wave barrier
	s_waitcnt lgkmcnt(0)
	ds_write_b128 v100, v[120:123]
	ds_write_b128 v6, v[124:127]
	;; [unrolled: 1-line block ×4, first 2 shown]
	v_fma_f64 v[6:7], v[60:61], 2.0, -v[8:9]
	v_fma_f64 v[46:47], v[4:5], 2.0, -v[48:49]
	;; [unrolled: 1-line block ×3, first 2 shown]
	v_add_f64 v[52:53], v[40:41], -v[106:107]
	v_add_f64 v[56:57], v[90:91], -v[74:75]
	;; [unrolled: 1-line block ×4, first 2 shown]
	v_mul_u32_u24_e32 v4, 12, v207
	v_fma_f64 v[50:51], v[40:41], 2.0, -v[52:53]
	v_fma_f64 v[54:55], v[90:91], 2.0, -v[56:57]
	;; [unrolled: 1-line block ×4, first 2 shown]
	v_add_f64 v[86:87], v[78:79], -v[118:119]
	v_add_f64 v[96:97], v[110:111], -v[114:115]
	v_lshlrev_b32_e32 v74, 4, v4
	v_fma_f64 v[84:85], v[78:79], 2.0, -v[86:87]
	v_fma_f64 v[94:95], v[110:111], 2.0, -v[96:97]
	ds_write_b128 v188, v[6:9]
	ds_write_b128 v101, v[46:49]
	;; [unrolled: 1-line block ×3, first 2 shown]
	ds_write_b128 v100, v[50:53] offset:5824
	ds_write_b128 v132, v[54:57]
	ds_write_b128 v100, v[58:61] offset:7488
	ds_write_b128 v116, v[80:83]
	;; [unrolled: 2-line block ×3, first 2 shown]
	s_waitcnt lgkmcnt(0)
	; wave barrier
	s_waitcnt lgkmcnt(0)
	global_load_dwordx4 v[48:51], v74, s[4:5] offset:16
	global_load_dwordx4 v[44:47], v74, s[4:5] offset:32
	global_load_dwordx4 v[40:43], v74, s[4:5] offset:48
	global_load_dwordx4 v[56:59], v74, s[4:5] offset:64
	global_load_dwordx4 v[52:55], v74, s[4:5] offset:80
	global_load_dwordx4 v[100:103], v74, s[4:5] offset:96
	global_load_dwordx4 v[110:113], v74, s[4:5] offset:112
	global_load_dwordx4 v[114:117], v74, s[4:5] offset:128
	global_load_dwordx4 v[118:121], v74, s[4:5] offset:144
	ds_read_b64 v[8:9], v201
	ds_read_b64 v[60:61], v202
	;; [unrolled: 1-line block ×5, first 2 shown]
	ds_read2_b64 v[94:97], v195 offset0:4 offset1:108
	global_load_dwordx4 v[4:7], v74, s[4:5]
	global_load_dwordx4 v[122:125], v74, s[4:5] offset:160
	ds_read_b64 v[106:107], v200
	s_mov_b32 s36, 0x4267c47c
	s_mov_b32 s30, 0x42a4c3d2
	;; [unrolled: 1-line block ×36, first 2 shown]
	s_movk_i32 s0, 0x4f
	v_cmp_lt_u32_e64 s[2:3], 25, v180
	s_waitcnt vmcnt(10)
	v_mul_f64 v[84:85], v[72:73], v[50:51]
	s_waitcnt lgkmcnt(6)
	v_mul_f64 v[70:71], v[8:9], v[50:51]
	v_fmac_f64_e32 v[84:85], v[8:9], v[48:49]
	s_waitcnt vmcnt(9) lgkmcnt(5)
	v_mul_f64 v[8:9], v[60:61], v[46:47]
	v_fma_f64 v[80:81], v[72:73], v[48:49], -v[70:71]
	v_fma_f64 v[72:73], v[10:11], v[44:45], -v[8:9]
	v_mul_f64 v[82:83], v[10:11], v[46:47]
	global_load_dwordx4 v[8:11], v74, s[4:5] offset:176
	v_fmac_f64_e32 v[82:83], v[60:61], v[44:45]
	s_waitcnt lgkmcnt(1)
	v_mul_f64 v[60:61], v[94:95], v[50:51]
	v_mul_f64 v[74:75], v[66:67], v[50:51]
	v_fma_f64 v[70:71], v[66:67], v[48:49], -v[60:61]
	v_fmac_f64_e32 v[74:75], v[94:95], v[48:49]
	v_mul_f64 v[48:49], v[96:97], v[46:47]
	v_fma_f64 v[66:67], v[68:69], v[44:45], -v[48:49]
	v_mul_f64 v[68:69], v[68:69], v[46:47]
	ds_read2_b64 v[46:49], v206 offset0:84 offset1:188
	v_fmac_f64_e32 v[68:69], v[96:97], v[44:45]
	s_waitcnt vmcnt(9)
	v_mul_f64 v[44:45], v[64:65], v[42:43]
	v_fma_f64 v[90:91], v[88:89], v[40:41], -v[44:45]
	s_waitcnt vmcnt(8)
	v_mul_f64 v[44:45], v[78:79], v[58:59]
	v_mul_f64 v[96:97], v[88:89], v[42:43]
	v_fma_f64 v[88:89], v[92:93], v[56:57], -v[44:45]
	s_waitcnt vmcnt(7)
	v_mul_f64 v[44:45], v[98:99], v[54:55]
	v_fmac_f64_e32 v[96:97], v[64:65], v[40:41]
	v_fma_f64 v[86:87], v[76:77], v[52:53], -v[44:45]
	s_waitcnt lgkmcnt(0)
	v_mul_f64 v[44:45], v[46:47], v[42:43]
	v_mul_f64 v[64:65], v[36:37], v[42:43]
	v_fma_f64 v[60:61], v[36:37], v[40:41], -v[44:45]
	v_fmac_f64_e32 v[64:65], v[46:47], v[40:41]
	ds_read2_b64 v[40:43], v190 offset0:164 offset1:216
	v_mul_f64 v[36:37], v[48:49], v[58:59]
	v_mul_f64 v[94:95], v[92:93], v[58:59]
	;; [unrolled: 1-line block ×3, first 2 shown]
	v_fma_f64 v[44:45], v[38:39], v[56:57], -v[36:37]
	v_mul_f64 v[46:47], v[38:39], v[58:59]
	s_waitcnt vmcnt(6) lgkmcnt(0)
	v_mul_f64 v[36:37], v[42:43], v[102:103]
	v_fmac_f64_e32 v[92:93], v[98:99], v[52:53]
	v_fmac_f64_e32 v[46:47], v[48:49], v[56:57]
	v_fma_f64 v[98:99], v[34:35], v[100:101], -v[36:37]
	v_mul_f64 v[36:37], v[40:41], v[54:55]
	ds_read2_b64 v[48:51], v191 offset0:12 offset1:64
	v_mul_f64 v[38:39], v[32:33], v[54:55]
	v_fma_f64 v[36:37], v[32:33], v[52:53], -v[36:37]
	v_fmac_f64_e32 v[38:39], v[40:41], v[52:53]
	ds_read2_b64 v[52:55], v191 offset0:116 offset1:168
	v_fmac_f64_e32 v[94:95], v[78:79], v[56:57]
	ds_read2_b64 v[56:59], v194 offset0:92 offset1:144
	v_mul_f64 v[34:35], v[34:35], v[102:103]
	s_waitcnt vmcnt(5) lgkmcnt(2)
	v_mul_f64 v[32:33], v[50:51], v[112:113]
	v_mul_f64 v[40:41], v[48:49], v[102:103]
	ds_read2_b64 v[76:79], v192 offset0:68 offset1:120
	v_fmac_f64_e32 v[34:35], v[42:43], v[100:101]
	v_fma_f64 v[32:33], v[30:31], v[110:111], -v[32:33]
	v_fma_f64 v[40:41], v[28:29], v[100:101], -v[40:41]
	v_mul_f64 v[30:31], v[30:31], v[112:113]
	v_mul_f64 v[42:43], v[28:29], v[102:103]
	s_waitcnt lgkmcnt(2)
	v_mul_f64 v[28:29], v[52:53], v[112:113]
	v_fmac_f64_e32 v[42:43], v[48:49], v[100:101]
	v_fmac_f64_e32 v[30:31], v[50:51], v[110:111]
	v_fma_f64 v[48:49], v[24:25], v[110:111], -v[28:29]
	v_mul_f64 v[50:51], v[24:25], v[112:113]
	s_waitcnt vmcnt(4)
	v_mul_f64 v[24:25], v[54:55], v[116:117]
	ds_read2_b64 v[100:103], v192 offset0:172 offset1:224
	v_fma_f64 v[24:25], v[26:27], v[114:115], -v[24:25]
	v_mul_f64 v[26:27], v[26:27], v[116:117]
	s_waitcnt lgkmcnt(2)
	v_mul_f64 v[28:29], v[56:57], v[116:117]
	v_fmac_f64_e32 v[50:51], v[52:53], v[110:111]
	v_fmac_f64_e32 v[26:27], v[54:55], v[114:115]
	v_fma_f64 v[52:53], v[20:21], v[114:115], -v[28:29]
	v_mul_f64 v[54:55], v[20:21], v[116:117]
	s_waitcnt vmcnt(3)
	v_mul_f64 v[20:21], v[58:59], v[120:121]
	ds_read_b64 v[110:111], v189 offset:10400
	v_fma_f64 v[20:21], v[22:23], v[118:119], -v[20:21]
	v_mul_f64 v[22:23], v[22:23], v[120:121]
	s_waitcnt lgkmcnt(2)
	v_mul_f64 v[28:29], v[76:77], v[120:121]
	v_fmac_f64_e32 v[54:55], v[56:57], v[114:115]
	v_fmac_f64_e32 v[22:23], v[58:59], v[118:119]
	v_fma_f64 v[56:57], v[16:17], v[118:119], -v[28:29]
	v_mul_f64 v[58:59], v[16:17], v[120:121]
	s_waitcnt vmcnt(1)
	v_mul_f64 v[16:17], v[78:79], v[124:125]
	v_fma_f64 v[16:17], v[18:19], v[122:123], -v[16:17]
	v_mul_f64 v[18:19], v[18:19], v[124:125]
	s_waitcnt lgkmcnt(1)
	v_mul_f64 v[28:29], v[100:101], v[124:125]
	v_fmac_f64_e32 v[58:59], v[76:77], v[118:119]
	v_fmac_f64_e32 v[18:19], v[78:79], v[122:123]
	v_fma_f64 v[76:77], v[12:13], v[122:123], -v[28:29]
	v_mul_f64 v[78:79], v[12:13], v[124:125]
	s_waitcnt vmcnt(0)
	v_mul_f64 v[12:13], v[102:103], v[10:11]
	v_fmac_f64_e32 v[78:79], v[100:101], v[122:123]
	ds_read_b64 v[100:101], v193
	v_fma_f64 v[28:29], v[14:15], v[8:9], -v[12:13]
	v_mul_f64 v[12:13], v[14:15], v[10:11]
	s_waitcnt lgkmcnt(1)
	v_mul_f64 v[14:15], v[110:111], v[10:11]
	v_fmac_f64_e32 v[12:13], v[102:103], v[8:9]
	v_fma_f64 v[102:103], v[104:105], v[8:9], -v[14:15]
	v_mul_f64 v[104:105], v[104:105], v[10:11]
	v_fmac_f64_e32 v[104:105], v[110:111], v[8:9]
	v_mul_f64 v[8:9], v[106:107], v[6:7]
	v_fma_f64 v[114:115], v[108:109], v[4:5], -v[8:9]
	ds_read2_b64 v[110:113], v189 offset1:156
	v_add_f64 v[136:137], v[0:1], v[114:115]
	v_add_f64 v[136:137], v[136:137], v[80:81]
	v_add_f64 v[136:137], v[136:137], v[72:73]
	v_add_f64 v[136:137], v[136:137], v[90:91]
	v_mul_f64 v[116:117], v[108:109], v[6:7]
	v_add_f64 v[136:137], v[136:137], v[88:89]
	v_fmac_f64_e32 v[116:117], v[106:107], v[4:5]
	s_waitcnt lgkmcnt(0)
	v_mul_f64 v[8:9], v[112:113], v[6:7]
	v_mul_f64 v[108:109], v[2:3], v[6:7]
	v_add_f64 v[136:137], v[136:137], v[86:87]
	v_fma_f64 v[106:107], v[2:3], v[4:5], -v[8:9]
	v_fmac_f64_e32 v[108:109], v[112:113], v[4:5]
	v_add_f64 v[4:5], v[116:117], -v[12:13]
	v_add_f64 v[136:137], v[136:137], v[98:99]
	v_add_f64 v[2:3], v[114:115], v[28:29]
	v_mul_f64 v[6:7], v[4:5], s[36:37]
	v_mul_f64 v[10:11], v[4:5], s[30:31]
	;; [unrolled: 1-line block ×6, first 2 shown]
	v_add_f64 v[136:137], v[136:137], v[32:33]
	v_fma_f64 v[8:9], v[2:3], s[14:15], -v[6:7]
	v_fmac_f64_e32 v[6:7], s[14:15], v[2:3]
	v_fma_f64 v[14:15], v[2:3], s[12:13], -v[10:11]
	v_fmac_f64_e32 v[10:11], s[12:13], v[2:3]
	v_fma_f64 v[118:119], v[2:3], s[8:9], -v[112:113]
	v_fmac_f64_e32 v[112:113], s[8:9], v[2:3]
	v_fma_f64 v[122:123], v[2:3], s[18:19], -v[120:121]
	v_fmac_f64_e32 v[120:121], s[18:19], v[2:3]
	v_fma_f64 v[126:127], v[2:3], s[22:23], -v[124:125]
	v_fmac_f64_e32 v[124:125], s[22:23], v[2:3]
	v_fma_f64 v[134:135], v[2:3], s[26:27], -v[132:133]
	v_fmac_f64_e32 v[132:133], s[26:27], v[2:3]
	v_add_f64 v[136:137], v[136:137], v[24:25]
	v_add_f64 v[138:139], v[0:1], v[8:9]
	;; [unrolled: 1-line block ×13, first 2 shown]
	v_add_f64 v[0:1], v[114:115], -v[28:29]
	v_add_f64 v[136:137], v[136:137], v[20:21]
	v_add_f64 v[2:3], v[116:117], v[12:13]
	v_mul_f64 v[126:127], v[0:1], s[20:21]
	v_add_f64 v[136:137], v[136:137], v[16:17]
	v_add_f64 v[162:163], v[84:85], -v[18:19]
	v_mul_f64 v[118:119], v[0:1], s[30:31]
	v_fma_f64 v[140:141], s[18:19], v[2:3], v[126:127]
	v_fma_f64 v[142:143], v[2:3], s[18:19], -v[126:127]
	v_mul_f64 v[126:127], v[0:1], s[24:25]
	v_add_f64 v[176:177], v[136:137], v[28:29]
	v_add_f64 v[28:29], v[80:81], v[16:17]
	v_mul_f64 v[136:137], v[162:163], s[30:31]
	v_fma_f64 v[120:121], s[12:13], v[2:3], v[118:119]
	v_mul_f64 v[122:123], v[0:1], s[34:35]
	v_fma_f64 v[144:145], s[22:23], v[2:3], v[126:127]
	v_fma_f64 v[146:147], v[2:3], s[22:23], -v[126:127]
	v_add_f64 v[126:127], v[110:111], v[140:141]
	v_fma_f64 v[140:141], v[28:29], s[12:13], -v[136:137]
	v_add_f64 v[164:165], v[82:83], -v[22:23]
	v_fma_f64 v[124:125], s[8:9], v[2:3], v[122:123]
	v_add_f64 v[134:135], v[110:111], v[120:121]
	v_add_f64 v[120:121], v[110:111], v[142:143]
	;; [unrolled: 1-line block ×4, first 2 shown]
	v_mul_f64 v[140:141], v[164:165], s[34:35]
	v_mul_f64 v[112:113], v[0:1], s[36:37]
	v_fma_f64 v[118:119], v[2:3], s[12:13], -v[118:119]
	v_fma_f64 v[122:123], v[2:3], s[8:9], -v[122:123]
	v_mul_f64 v[0:1], v[0:1], s[28:29]
	v_add_f64 v[132:133], v[110:111], v[124:125]
	v_add_f64 v[124:125], v[110:111], v[144:145]
	v_fma_f64 v[144:145], v[138:139], s[8:9], -v[140:141]
	v_add_f64 v[166:167], v[96:97], -v[26:27]
	v_fma_f64 v[114:115], s[14:15], v[2:3], v[112:113]
	v_fma_f64 v[112:113], v[2:3], s[14:15], -v[112:113]
	v_fma_f64 v[148:149], s[26:27], v[2:3], v[0:1]
	v_fma_f64 v[150:151], v[2:3], s[26:27], -v[0:1]
	v_add_f64 v[2:3], v[110:111], v[116:117]
	v_add_f64 v[116:117], v[110:111], v[118:119]
	;; [unrolled: 1-line block ×6, first 2 shown]
	v_mul_f64 v[144:145], v[166:167], s[20:21]
	v_add_f64 v[0:1], v[110:111], v[114:115]
	v_add_f64 v[114:115], v[110:111], v[112:113]
	;; [unrolled: 1-line block ×3, first 2 shown]
	v_fma_f64 v[148:149], v[142:143], s[18:19], -v[144:145]
	v_add_f64 v[168:169], v[94:95], -v[30:31]
	v_add_f64 v[110:111], v[110:111], v[150:151]
	v_add_f64 v[150:151], v[148:149], v[146:147]
	;; [unrolled: 1-line block ×3, first 2 shown]
	v_mul_f64 v[148:149], v[168:169], s[24:25]
	v_fma_f64 v[152:153], v[146:147], s[22:23], -v[148:149]
	v_add_f64 v[170:171], v[92:93], -v[34:35]
	v_add_f64 v[178:179], v[152:153], v[150:151]
	v_add_f64 v[150:151], v[86:87], v[98:99]
	v_mul_f64 v[152:153], v[170:171], s[28:29]
	v_fma_f64 v[208:209], v[150:151], s[26:27], -v[152:153]
	v_add_f64 v[178:179], v[208:209], v[178:179]
	v_lshrrev_b32_e32 v208, 1, v180
	v_mul_u32_u24_e32 v208, 26, v208
	v_or_b32_e32 v208, v208, v207
	v_lshl_add_u32 v208, v208, 3, 0
	s_waitcnt lgkmcnt(0)
	; wave barrier
	ds_write2_b64 v208, v[176:177], v[178:179] offset1:2
	v_mul_f64 v[176:177], v[162:163], s[20:21]
	v_fma_f64 v[178:179], v[28:29], s[18:19], -v[176:177]
	v_add_f64 v[174:175], v[178:179], v[174:175]
	v_mul_f64 v[178:179], v[162:163], s[28:29]
	v_fma_f64 v[210:211], v[28:29], s[26:27], -v[178:179]
	v_add_f64 v[172:173], v[210:211], v[172:173]
	;; [unrolled: 3-line block ×10, first 2 shown]
	ds_write2_b64 v208, v[174:175], v[172:173] offset0:4 offset1:6
	v_mul_f64 v[172:173], v[162:163], s[46:47]
	v_fma_f64 v[174:175], v[28:29], s[22:23], -v[172:173]
	v_add_f64 v[160:161], v[174:175], v[160:161]
	v_mul_f64 v[174:175], v[162:163], s[38:39]
	v_fma_f64 v[226:227], v[28:29], s[8:9], -v[174:175]
	v_add_f64 v[158:159], v[226:227], v[158:159]
	;; [unrolled: 3-line block ×10, first 2 shown]
	ds_write2_b64 v208, v[160:161], v[158:159] offset0:8 offset1:10
	v_mul_f64 v[158:159], v[162:163], s[40:41]
	v_fma_f64 v[160:161], v[28:29], s[14:15], -v[158:159]
	v_fmac_f64_e32 v[158:159], s[14:15], v[28:29]
	v_fmac_f64_e32 v[176:177], s[18:19], v[28:29]
	;; [unrolled: 1-line block ×3, first 2 shown]
	v_add_f64 v[154:155], v[158:159], v[154:155]
	v_mul_f64 v[158:159], v[164:165], s[24:25]
	v_fmac_f64_e32 v[172:173], s[22:23], v[28:29]
	v_fmac_f64_e32 v[174:175], s[8:9], v[28:29]
	v_add_f64 v[6:7], v[176:177], v[6:7]
	v_add_f64 v[8:9], v[178:179], v[8:9]
	v_fmac_f64_e32 v[210:211], s[26:27], v[138:139]
	v_fmac_f64_e32 v[212:213], s[18:19], v[138:139]
	v_add_f64 v[156:157], v[160:161], v[156:157]
	v_fma_f64 v[160:161], v[138:139], s[22:23], -v[158:159]
	v_fmac_f64_e32 v[158:159], s[22:23], v[138:139]
	v_add_f64 v[10:11], v[172:173], v[10:11]
	v_add_f64 v[14:15], v[174:175], v[14:15]
	v_fmac_f64_e32 v[226:227], s[14:15], v[138:139]
	v_fmac_f64_e32 v[228:229], s[12:13], v[138:139]
	v_add_f64 v[6:7], v[210:211], v[6:7]
	v_add_f64 v[8:9], v[212:213], v[8:9]
	v_fmac_f64_e32 v[214:215], s[22:23], v[142:143]
	v_fmac_f64_e32 v[216:217], s[14:15], v[142:143]
	v_add_f64 v[154:155], v[158:159], v[154:155]
	v_mul_f64 v[158:159], v[166:167], s[42:43]
	v_add_f64 v[10:11], v[226:227], v[10:11]
	v_add_f64 v[14:15], v[228:229], v[14:15]
	v_fmac_f64_e32 v[230:231], s[8:9], v[142:143]
	v_fmac_f64_e32 v[232:233], s[26:27], v[142:143]
	v_add_f64 v[6:7], v[214:215], v[6:7]
	v_add_f64 v[8:9], v[216:217], v[8:9]
	v_fmac_f64_e32 v[218:219], s[8:9], v[146:147]
	v_fmac_f64_e32 v[220:221], s[12:13], v[146:147]
	v_add_f64 v[156:157], v[160:161], v[156:157]
	v_fma_f64 v[160:161], v[142:143], s[12:13], -v[158:159]
	v_fmac_f64_e32 v[158:159], s[12:13], v[142:143]
	v_add_f64 v[10:11], v[230:231], v[10:11]
	v_add_f64 v[14:15], v[232:233], v[14:15]
	v_fmac_f64_e32 v[234:235], s[26:27], v[146:147]
	v_fmac_f64_e32 v[236:237], s[14:15], v[146:147]
	v_add_f64 v[6:7], v[218:219], v[6:7]
	v_add_f64 v[8:9], v[220:221], v[8:9]
	v_fmac_f64_e32 v[222:223], s[14:15], v[150:151]
	v_fmac_f64_e32 v[224:225], s[22:23], v[150:151]
	v_add_f64 v[154:155], v[158:159], v[154:155]
	v_mul_f64 v[158:159], v[168:169], s[20:21]
	v_add_f64 v[10:11], v[234:235], v[10:11]
	v_add_f64 v[14:15], v[236:237], v[14:15]
	v_fmac_f64_e32 v[238:239], s[12:13], v[150:151]
	v_fmac_f64_e32 v[240:241], s[18:19], v[150:151]
	v_add_f64 v[6:7], v[222:223], v[6:7]
	v_add_f64 v[8:9], v[224:225], v[8:9]
	v_fmac_f64_e32 v[136:137], s[12:13], v[28:29]
	v_add_f64 v[156:157], v[160:161], v[156:157]
	v_fma_f64 v[160:161], v[146:147], s[18:19], -v[158:159]
	v_fmac_f64_e32 v[158:159], s[18:19], v[146:147]
	v_add_f64 v[10:11], v[238:239], v[10:11]
	v_add_f64 v[14:15], v[240:241], v[14:15]
	ds_write2_b64 v208, v[8:9], v[6:7] offset0:20 offset1:22
	v_add_f64 v[4:5], v[136:137], v[4:5]
	v_fmac_f64_e32 v[140:141], s[8:9], v[138:139]
	v_add_f64 v[8:9], v[108:109], -v[104:105]
	v_add_f64 v[154:155], v[158:159], v[154:155]
	v_mul_f64 v[158:159], v[170:171], s[38:39]
	ds_write2_b64 v208, v[14:15], v[10:11] offset0:16 offset1:18
	v_add_f64 v[4:5], v[140:141], v[4:5]
	v_fmac_f64_e32 v[144:145], s[18:19], v[142:143]
	v_add_f64 v[6:7], v[106:107], v[102:103]
	v_mul_f64 v[10:11], v[8:9], s[36:37]
	v_add_f64 v[138:139], v[74:75], -v[78:79]
	v_add_f64 v[156:157], v[160:161], v[156:157]
	v_fma_f64 v[160:161], v[150:151], s[8:9], -v[158:159]
	v_fmac_f64_e32 v[158:159], s[8:9], v[150:151]
	v_add_f64 v[4:5], v[144:145], v[4:5]
	v_fmac_f64_e32 v[148:149], s[22:23], v[146:147]
	v_fma_f64 v[14:15], v[6:7], s[14:15], -v[10:11]
	v_add_f64 v[28:29], v[70:71], v[76:77]
	v_mul_f64 v[140:141], v[138:139], s[30:31]
	v_add_f64 v[144:145], v[68:69], -v[58:59]
	v_add_f64 v[156:157], v[160:161], v[156:157]
	v_add_f64 v[154:155], v[158:159], v[154:155]
	;; [unrolled: 1-line block ×3, first 2 shown]
	v_fmac_f64_e32 v[152:153], s[26:27], v[150:151]
	v_add_f64 v[14:15], v[62:63], v[14:15]
	v_fma_f64 v[136:137], v[28:29], s[12:13], -v[140:141]
	v_add_f64 v[142:143], v[66:67], v[56:57]
	v_mul_f64 v[146:147], v[144:145], s[34:35]
	v_add_f64 v[150:151], v[64:65], -v[54:55]
	ds_write2_b64 v208, v[156:157], v[154:155] offset0:12 offset1:14
	v_add_f64 v[4:5], v[152:153], v[4:5]
	v_add_f64 v[14:15], v[136:137], v[14:15]
	v_fma_f64 v[136:137], v[142:143], s[8:9], -v[146:147]
	v_add_f64 v[148:149], v[60:61], v[52:53]
	v_mul_f64 v[152:153], v[150:151], s[20:21]
	v_add_f64 v[156:157], v[46:47], -v[50:51]
	v_add_f64 v[14:15], v[136:137], v[14:15]
	v_fma_f64 v[136:137], v[148:149], s[18:19], -v[152:153]
	v_add_f64 v[154:155], v[44:45], v[48:49]
	v_mul_f64 v[158:159], v[156:157], s[24:25]
	v_add_f64 v[162:163], v[38:39], -v[42:43]
	v_add_f64 v[14:15], v[136:137], v[14:15]
	v_fma_f64 v[136:137], v[154:155], s[22:23], -v[158:159]
	v_add_f64 v[160:161], v[36:37], v[40:41]
	v_mul_f64 v[164:165], v[162:163], s[28:29]
	ds_write_b64 v208, v[4:5] offset:192
	v_lshrrev_b32_e32 v4, 1, v181
	v_add_f64 v[14:15], v[136:137], v[14:15]
	v_fma_f64 v[136:137], v[160:161], s[26:27], -v[164:165]
	v_mul_lo_u32 v4, v4, 26
	v_add_f64 v[14:15], v[136:137], v[14:15]
	v_or_b32_e32 v136, v4, v207
	v_add_f64 v[4:5], v[62:63], v[106:107]
	v_add_f64 v[4:5], v[4:5], v[70:71]
	;; [unrolled: 1-line block ×12, first 2 shown]
	v_lshl_add_u32 v136, v136, 3, 0
	ds_write2_b64 v136, v[4:5], v[14:15] offset1:2
	v_mul_f64 v[4:5], v[8:9], s[30:31]
	v_fma_f64 v[14:15], v[6:7], s[12:13], -v[4:5]
	v_mul_f64 v[166:167], v[138:139], s[20:21]
	v_add_f64 v[14:15], v[62:63], v[14:15]
	v_fma_f64 v[168:169], v[28:29], s[18:19], -v[166:167]
	v_add_f64 v[14:15], v[168:169], v[14:15]
	v_mul_f64 v[168:169], v[8:9], s[34:35]
	v_fma_f64 v[170:171], v[6:7], s[8:9], -v[168:169]
	v_mul_f64 v[172:173], v[138:139], s[28:29]
	v_add_f64 v[170:171], v[62:63], v[170:171]
	v_fma_f64 v[174:175], v[28:29], s[26:27], -v[172:173]
	v_add_f64 v[170:171], v[174:175], v[170:171]
	v_mul_f64 v[174:175], v[144:145], s[28:29]
	v_fma_f64 v[176:177], v[142:143], s[26:27], -v[174:175]
	v_add_f64 v[14:15], v[176:177], v[14:15]
	v_mul_f64 v[176:177], v[144:145], s[48:49]
	;; [unrolled: 3-line block ×8, first 2 shown]
	v_fma_f64 v[220:221], v[160:161], s[22:23], -v[218:219]
	v_add_f64 v[170:171], v[220:221], v[170:171]
	ds_write2_b64 v136, v[14:15], v[170:171] offset0:4 offset1:6
	v_mul_f64 v[14:15], v[8:9], s[20:21]
	v_fma_f64 v[170:171], v[6:7], s[18:19], -v[14:15]
	v_mul_f64 v[220:221], v[138:139], s[46:47]
	v_add_f64 v[170:171], v[62:63], v[170:171]
	v_fma_f64 v[222:223], v[28:29], s[22:23], -v[220:221]
	v_add_f64 v[170:171], v[222:223], v[170:171]
	v_mul_f64 v[222:223], v[8:9], s[24:25]
	v_fma_f64 v[224:225], v[6:7], s[22:23], -v[222:223]
	v_mul_f64 v[226:227], v[138:139], s[38:39]
	v_add_f64 v[224:225], v[62:63], v[224:225]
	v_fma_f64 v[228:229], v[28:29], s[8:9], -v[226:227]
	v_add_f64 v[224:225], v[228:229], v[224:225]
	v_mul_f64 v[228:229], v[144:145], s[40:41]
	v_fma_f64 v[230:231], v[142:143], s[14:15], -v[228:229]
	v_add_f64 v[170:171], v[230:231], v[170:171]
	v_mul_f64 v[230:231], v[144:145], s[30:31]
	v_fma_f64 v[232:233], v[142:143], s[12:13], -v[230:231]
	v_add_f64 v[224:225], v[232:233], v[224:225]
	v_mul_f64 v[232:233], v[150:151], s[34:35]
	v_fma_f64 v[234:235], v[148:149], s[8:9], -v[232:233]
	v_add_f64 v[170:171], v[234:235], v[170:171]
	v_mul_f64 v[234:235], v[150:151], s[44:45]
	v_fma_f64 v[236:237], v[148:149], s[26:27], -v[234:235]
	v_add_f64 v[224:225], v[236:237], v[224:225]
	v_mul_f64 v[236:237], v[156:157], s[44:45]
	v_fma_f64 v[238:239], v[154:155], s[26:27], -v[236:237]
	v_add_f64 v[170:171], v[238:239], v[170:171]
	v_mul_f64 v[238:239], v[156:157], s[40:41]
	v_fma_f64 v[240:241], v[154:155], s[14:15], -v[238:239]
	v_add_f64 v[224:225], v[240:241], v[224:225]
	v_mul_f64 v[240:241], v[162:163], s[42:43]
	v_fma_f64 v[242:243], v[160:161], s[12:13], -v[240:241]
	v_add_f64 v[170:171], v[242:243], v[170:171]
	v_mul_f64 v[242:243], v[162:163], s[20:21]
	v_fma_f64 v[244:245], v[160:161], s[18:19], -v[242:243]
	v_add_f64 v[224:225], v[244:245], v[224:225]
	v_mul_f64 v[8:9], v[8:9], s[28:29]
	ds_write2_b64 v136, v[170:171], v[224:225] offset0:8 offset1:10
	v_fma_f64 v[170:171], v[6:7], s[26:27], -v[8:9]
	v_mul_f64 v[138:139], v[138:139], s[40:41]
	v_fmac_f64_e32 v[8:9], s[26:27], v[6:7]
	v_fma_f64 v[224:225], v[28:29], s[14:15], -v[138:139]
	v_add_f64 v[8:9], v[62:63], v[8:9]
	v_fmac_f64_e32 v[138:139], s[14:15], v[28:29]
	v_add_f64 v[8:9], v[138:139], v[8:9]
	v_mul_f64 v[138:139], v[144:145], s[24:25]
	v_fma_f64 v[144:145], v[142:143], s[22:23], -v[138:139]
	v_fmac_f64_e32 v[138:139], s[22:23], v[142:143]
	v_add_f64 v[170:171], v[62:63], v[170:171]
	v_add_f64 v[8:9], v[138:139], v[8:9]
	v_mul_f64 v[138:139], v[150:151], s[42:43]
	v_add_f64 v[170:171], v[224:225], v[170:171]
	v_fma_f64 v[150:151], v[148:149], s[12:13], -v[138:139]
	v_fmac_f64_e32 v[138:139], s[12:13], v[148:149]
	v_add_f64 v[144:145], v[144:145], v[170:171]
	v_add_f64 v[8:9], v[138:139], v[8:9]
	v_mul_f64 v[138:139], v[156:157], s[20:21]
	v_add_f64 v[144:145], v[150:151], v[144:145]
	;; [unrolled: 6-line block ×3, first 2 shown]
	v_add_f64 v[144:145], v[150:151], v[144:145]
	v_fma_f64 v[150:151], v[160:161], s[8:9], -v[138:139]
	v_fmac_f64_e32 v[138:139], s[8:9], v[160:161]
	v_add_f64 v[2:3], v[2:3], v[96:97]
	v_add_f64 v[144:145], v[150:151], v[144:145]
	;; [unrolled: 1-line block ×3, first 2 shown]
	v_fmac_f64_e32 v[14:15], s[18:19], v[6:7]
	v_fmac_f64_e32 v[222:223], s[22:23], v[6:7]
	v_add_f64 v[2:3], v[2:3], v[94:95]
	ds_write2_b64 v136, v[144:145], v[8:9] offset0:12 offset1:14
	v_add_f64 v[8:9], v[62:63], v[14:15]
	v_fmac_f64_e32 v[220:221], s[22:23], v[28:29]
	v_add_f64 v[14:15], v[62:63], v[222:223]
	v_fmac_f64_e32 v[226:227], s[8:9], v[28:29]
	v_add_f64 v[2:3], v[2:3], v[92:93]
	v_add_f64 v[8:9], v[220:221], v[8:9]
	v_add_f64 v[14:15], v[226:227], v[14:15]
	v_fmac_f64_e32 v[228:229], s[14:15], v[142:143]
	v_fmac_f64_e32 v[230:231], s[12:13], v[142:143]
	v_add_f64 v[2:3], v[2:3], v[34:35]
	v_add_f64 v[8:9], v[228:229], v[8:9]
	v_add_f64 v[14:15], v[230:231], v[14:15]
	v_fmac_f64_e32 v[232:233], s[8:9], v[148:149]
	;; [unrolled: 5-line block ×3, first 2 shown]
	v_fmac_f64_e32 v[238:239], s[14:15], v[154:155]
	v_fmac_f64_e32 v[4:5], s[12:13], v[6:7]
	v_add_f64 v[2:3], v[2:3], v[26:27]
	v_add_f64 v[8:9], v[236:237], v[8:9]
	;; [unrolled: 1-line block ×3, first 2 shown]
	v_fmac_f64_e32 v[240:241], s[12:13], v[160:161]
	v_fmac_f64_e32 v[242:243], s[18:19], v[160:161]
	v_add_f64 v[4:5], v[62:63], v[4:5]
	v_fmac_f64_e32 v[166:167], s[18:19], v[28:29]
	v_add_f64 v[2:3], v[2:3], v[22:23]
	v_add_f64 v[150:151], v[80:81], -v[16:17]
	v_add_f64 v[8:9], v[240:241], v[8:9]
	v_add_f64 v[14:15], v[242:243], v[14:15]
	v_add_f64 v[4:5], v[166:167], v[4:5]
	v_fmac_f64_e32 v[168:169], s[8:9], v[6:7]
	v_add_f64 v[2:3], v[2:3], v[18:19]
	v_add_f64 v[144:145], v[84:85], v[18:19]
	v_mul_f64 v[156:157], v[150:151], s[30:31]
	v_add_f64 v[166:167], v[72:73], -v[20:21]
	ds_write2_b64 v136, v[14:15], v[8:9] offset0:16 offset1:18
	v_add_f64 v[8:9], v[62:63], v[168:169]
	v_fmac_f64_e32 v[172:173], s[26:27], v[28:29]
	v_fmac_f64_e32 v[174:175], s[26:27], v[142:143]
	v_add_f64 v[138:139], v[2:3], v[12:13]
	v_fma_f64 v[2:3], s[12:13], v[144:145], v[156:157]
	v_add_f64 v[162:163], v[82:83], v[22:23]
	v_mul_f64 v[168:169], v[166:167], s[34:35]
	v_add_f64 v[170:171], v[90:91], -v[24:25]
	v_add_f64 v[8:9], v[172:173], v[8:9]
	v_add_f64 v[4:5], v[174:175], v[4:5]
	v_fmac_f64_e32 v[176:177], s[18:19], v[142:143]
	v_add_f64 v[0:1], v[2:3], v[0:1]
	v_fma_f64 v[2:3], s[8:9], v[162:163], v[168:169]
	v_add_f64 v[96:97], v[96:97], v[26:27]
	v_mul_f64 v[172:173], v[170:171], s[20:21]
	v_add_f64 v[174:175], v[88:89], -v[32:33]
	v_add_f64 v[8:9], v[176:177], v[8:9]
	v_fmac_f64_e32 v[178:179], s[22:23], v[148:149]
	v_fmac_f64_e32 v[210:211], s[14:15], v[148:149]
	v_add_f64 v[0:1], v[2:3], v[0:1]
	v_fma_f64 v[2:3], s[18:19], v[96:97], v[172:173]
	v_add_f64 v[94:95], v[94:95], v[30:31]
	v_mul_f64 v[176:177], v[174:175], s[24:25]
	v_add_f64 v[98:99], v[86:87], -v[98:99]
	v_add_f64 v[4:5], v[178:179], v[4:5]
	v_add_f64 v[8:9], v[210:211], v[8:9]
	;; [unrolled: 1-line block ×3, first 2 shown]
	v_fma_f64 v[2:3], s[22:23], v[94:95], v[176:177]
	v_add_f64 v[178:179], v[92:93], v[34:35]
	v_mul_f64 v[210:211], v[98:99], s[28:29]
	v_fmac_f64_e32 v[212:213], s[8:9], v[154:155]
	v_add_f64 v[0:1], v[2:3], v[0:1]
	v_fma_f64 v[2:3], s[26:27], v[178:179], v[210:211]
	v_fmac_f64_e32 v[10:11], s[14:15], v[6:7]
	v_add_f64 v[4:5], v[212:213], v[4:5]
	v_add_f64 v[212:213], v[2:3], v[0:1]
	;; [unrolled: 1-line block ×3, first 2 shown]
	v_fmac_f64_e32 v[140:141], s[12:13], v[28:29]
	v_add_f64 v[0:1], v[140:141], v[0:1]
	v_fmac_f64_e32 v[146:147], s[8:9], v[142:143]
	v_add_f64 v[0:1], v[146:147], v[0:1]
	v_fmac_f64_e32 v[152:153], s[18:19], v[148:149]
	v_fmac_f64_e32 v[214:215], s[12:13], v[154:155]
	v_add_f64 v[0:1], v[152:153], v[0:1]
	v_fmac_f64_e32 v[158:159], s[22:23], v[154:155]
	v_add_f64 v[8:9], v[214:215], v[8:9]
	v_fmac_f64_e32 v[216:217], s[14:15], v[160:161]
	v_fmac_f64_e32 v[218:219], s[22:23], v[160:161]
	v_add_f64 v[0:1], v[158:159], v[0:1]
	v_fmac_f64_e32 v[164:165], s[26:27], v[160:161]
	v_add_f64 v[4:5], v[216:217], v[4:5]
	v_add_f64 v[8:9], v[218:219], v[8:9]
	;; [unrolled: 1-line block ×3, first 2 shown]
	v_mul_f64 v[62:63], v[150:151], s[20:21]
	ds_write2_b64 v136, v[8:9], v[4:5] offset0:20 offset1:22
	ds_write_b64 v136, v[0:1] offset:192
	s_waitcnt lgkmcnt(0)
	; wave barrier
	s_waitcnt lgkmcnt(0)
	ds_read_b64 v[88:89], v202
	ds_read_b64 v[84:85], v203
	;; [unrolled: 1-line block ×7, first 2 shown]
	ds_read_b64 v[86:87], v189 offset:10400
	ds_read2_b64 v[0:3], v189 offset1:156
	ds_read2_b64 v[24:27], v190 offset0:164 offset1:216
	ds_read2_b64 v[20:23], v191 offset0:12 offset1:64
	;; [unrolled: 1-line block ×8, first 2 shown]
	s_waitcnt lgkmcnt(0)
	; wave barrier
	s_waitcnt lgkmcnt(0)
	ds_write2_b64 v208, v[138:139], v[212:213] offset1:2
	v_fma_f64 v[138:139], s[18:19], v[144:145], v[62:63]
	v_add_f64 v[134:135], v[138:139], v[134:135]
	v_mul_f64 v[138:139], v[150:151], s[28:29]
	v_fma_f64 v[140:141], s[26:27], v[144:145], v[138:139]
	v_add_f64 v[132:133], v[140:141], v[132:133]
	v_mul_f64 v[140:141], v[166:167], s[28:29]
	;; [unrolled: 3-line block ×9, first 2 shown]
	v_fma_f64 v[164:165], s[22:23], v[178:179], v[160:161]
	v_add_f64 v[132:133], v[164:165], v[132:133]
	ds_write2_b64 v208, v[134:135], v[132:133] offset0:4 offset1:6
	v_mul_f64 v[132:133], v[150:151], s[46:47]
	v_fma_f64 v[134:135], s[22:23], v[144:145], v[132:133]
	v_add_f64 v[126:127], v[134:135], v[126:127]
	v_mul_f64 v[134:135], v[150:151], s[38:39]
	v_fma_f64 v[164:165], s[8:9], v[144:145], v[134:135]
	v_add_f64 v[124:125], v[164:165], v[124:125]
	;; [unrolled: 3-line block ×8, first 2 shown]
	v_mul_f64 v[222:223], v[98:99], s[42:43]
	v_fma_f64 v[224:225], s[12:13], v[178:179], v[222:223]
	v_fma_f64 v[62:63], v[144:145], s[18:19], -v[62:63]
	v_add_f64 v[126:127], v[224:225], v[126:127]
	v_mul_f64 v[224:225], v[98:99], s[20:21]
	v_add_f64 v[62:63], v[62:63], v[116:117]
	v_fma_f64 v[116:117], v[144:145], s[26:27], -v[138:139]
	v_fma_f64 v[226:227], s[18:19], v[178:179], v[224:225]
	v_add_f64 v[116:117], v[116:117], v[118:119]
	v_fma_f64 v[118:119], v[144:145], s[22:23], -v[132:133]
	v_add_f64 v[124:125], v[226:227], v[124:125]
	v_add_f64 v[118:119], v[118:119], v[120:121]
	v_fma_f64 v[120:121], v[144:145], s[8:9], -v[134:135]
	ds_write2_b64 v208, v[126:127], v[124:125] offset0:8 offset1:10
	v_fma_f64 v[124:125], v[144:145], s[12:13], -v[156:157]
	v_add_f64 v[120:121], v[120:121], v[122:123]
	v_mul_f64 v[122:123], v[150:151], s[40:41]
	v_add_f64 v[114:115], v[124:125], v[114:115]
	v_fma_f64 v[124:125], s[14:15], v[144:145], v[122:123]
	v_fma_f64 v[122:123], v[144:145], s[14:15], -v[122:123]
	v_add_f64 v[110:111], v[122:123], v[110:111]
	v_fma_f64 v[122:123], v[162:163], s[8:9], -v[168:169]
	v_add_f64 v[114:115], v[122:123], v[114:115]
	v_fma_f64 v[122:123], v[162:163], s[26:27], -v[140:141]
	v_add_f64 v[62:63], v[122:123], v[62:63]
	v_fma_f64 v[122:123], v[162:163], s[18:19], -v[142:143]
	v_add_f64 v[116:117], v[122:123], v[116:117]
	v_fma_f64 v[122:123], v[162:163], s[14:15], -v[164:165]
	v_add_f64 v[118:119], v[122:123], v[118:119]
	v_fma_f64 v[122:123], v[162:163], s[12:13], -v[212:213]
	v_add_f64 v[120:121], v[122:123], v[120:121]
	v_mul_f64 v[122:123], v[166:167], s[24:25]
	v_add_f64 v[112:113], v[124:125], v[112:113]
	v_fma_f64 v[124:125], s[22:23], v[162:163], v[122:123]
	v_fma_f64 v[122:123], v[162:163], s[22:23], -v[122:123]
	v_add_f64 v[110:111], v[122:123], v[110:111]
	v_fma_f64 v[122:123], v[96:97], s[18:19], -v[172:173]
	v_add_f64 v[114:115], v[122:123], v[114:115]
	v_fma_f64 v[122:123], v[96:97], s[22:23], -v[146:147]
	v_add_f64 v[62:63], v[122:123], v[62:63]
	v_fma_f64 v[122:123], v[96:97], s[14:15], -v[148:149]
	v_add_f64 v[116:117], v[122:123], v[116:117]
	v_fma_f64 v[122:123], v[96:97], s[8:9], -v[214:215]
	v_add_f64 v[118:119], v[122:123], v[118:119]
	;; [unrolled: 15-line block ×3, first 2 shown]
	v_fma_f64 v[118:119], v[94:95], s[14:15], -v[220:221]
	v_add_f64 v[118:119], v[118:119], v[120:121]
	v_mul_f64 v[120:121], v[174:175], s[20:21]
	v_fma_f64 v[122:123], s[18:19], v[94:95], v[120:121]
	v_fma_f64 v[94:95], v[94:95], s[18:19], -v[120:121]
	v_add_f64 v[94:95], v[94:95], v[96:97]
	v_fma_f64 v[96:97], v[178:179], s[26:27], -v[210:211]
	v_add_f64 v[96:97], v[96:97], v[110:111]
	;; [unrolled: 2-line block ×5, first 2 shown]
	v_fma_f64 v[116:117], v[178:179], s[18:19], -v[224:225]
	v_mul_f64 v[98:99], v[98:99], s[38:39]
	v_add_f64 v[116:117], v[116:117], v[118:119]
	v_fma_f64 v[118:119], s[8:9], v[178:179], v[98:99]
	v_fma_f64 v[98:99], v[178:179], s[8:9], -v[98:99]
	v_add_f64 v[94:95], v[98:99], v[94:95]
	v_add_f64 v[98:99], v[100:101], v[108:109]
	;; [unrolled: 1-line block ×14, first 2 shown]
	v_add_f64 v[102:103], v[106:107], -v[102:103]
	v_add_f64 v[112:113], v[118:119], v[112:113]
	v_add_f64 v[98:99], v[98:99], v[104:105]
	;; [unrolled: 1-line block ×3, first 2 shown]
	v_mul_f64 v[106:107], v[102:103], s[36:37]
	v_mul_f64 v[118:119], v[102:103], s[30:31]
	;; [unrolled: 1-line block ×6, first 2 shown]
	v_add_f64 v[70:71], v[70:71], -v[76:77]
	v_fma_f64 v[108:109], s[14:15], v[104:105], v[106:107]
	v_fma_f64 v[106:107], v[104:105], s[14:15], -v[106:107]
	v_fma_f64 v[120:121], s[12:13], v[104:105], v[118:119]
	v_fma_f64 v[118:119], v[104:105], s[12:13], -v[118:119]
	;; [unrolled: 2-line block ×6, first 2 shown]
	v_add_f64 v[74:75], v[74:75], v[78:79]
	v_mul_f64 v[76:77], v[70:71], s[30:31]
	v_add_f64 v[104:105], v[100:101], v[108:109]
	v_add_f64 v[106:107], v[100:101], v[106:107]
	;; [unrolled: 1-line block ×12, first 2 shown]
	v_fma_f64 v[78:79], s[12:13], v[74:75], v[76:77]
	v_fma_f64 v[76:77], v[74:75], s[12:13], -v[76:77]
	v_mul_f64 v[102:103], v[70:71], s[20:21]
	v_add_f64 v[78:79], v[78:79], v[104:105]
	v_add_f64 v[76:77], v[76:77], v[106:107]
	v_fma_f64 v[104:105], s[18:19], v[74:75], v[102:103]
	v_fma_f64 v[102:103], v[74:75], s[18:19], -v[102:103]
	v_mul_f64 v[106:107], v[70:71], s[28:29]
	v_add_f64 v[104:105], v[104:105], v[108:109]
	v_add_f64 v[102:103], v[102:103], v[118:119]
	v_fma_f64 v[108:109], s[26:27], v[74:75], v[106:107]
	v_fma_f64 v[106:107], v[74:75], s[26:27], -v[106:107]
	v_mul_f64 v[118:119], v[70:71], s[46:47]
	v_add_f64 v[56:57], v[66:67], -v[56:57]
	v_add_f64 v[108:109], v[108:109], v[120:121]
	v_add_f64 v[106:107], v[106:107], v[122:123]
	v_fma_f64 v[120:121], s[22:23], v[74:75], v[118:119]
	v_fma_f64 v[118:119], v[74:75], s[22:23], -v[118:119]
	v_mul_f64 v[122:123], v[70:71], s[38:39]
	v_mul_f64 v[70:71], v[70:71], s[40:41]
	v_add_f64 v[58:59], v[68:69], v[58:59]
	v_mul_f64 v[66:67], v[56:57], s[34:35]
	v_add_f64 v[120:121], v[120:121], v[124:125]
	v_add_f64 v[118:119], v[118:119], v[126:127]
	v_fma_f64 v[124:125], s[8:9], v[74:75], v[122:123]
	v_fma_f64 v[122:123], v[74:75], s[8:9], -v[122:123]
	v_fma_f64 v[126:127], s[14:15], v[74:75], v[70:71]
	v_fma_f64 v[70:71], v[74:75], s[14:15], -v[70:71]
	;; [unrolled: 2-line block ×3, first 2 shown]
	v_mul_f64 v[74:75], v[56:57], s[28:29]
	v_add_f64 v[68:69], v[68:69], v[78:79]
	v_add_f64 v[66:67], v[66:67], v[76:77]
	v_fma_f64 v[76:77], s[26:27], v[58:59], v[74:75]
	v_fma_f64 v[74:75], v[58:59], s[26:27], -v[74:75]
	v_mul_f64 v[78:79], v[56:57], s[48:49]
	v_add_f64 v[70:71], v[70:71], v[100:101]
	v_add_f64 v[74:75], v[74:75], v[102:103]
	v_fma_f64 v[100:101], s[18:19], v[58:59], v[78:79]
	v_fma_f64 v[78:79], v[58:59], s[18:19], -v[78:79]
	;; [unrolled: 5-line block ×3, first 2 shown]
	v_mul_f64 v[106:107], v[56:57], s[30:31]
	v_mul_f64 v[56:57], v[56:57], s[24:25]
	v_add_f64 v[52:53], v[60:61], -v[52:53]
	v_add_f64 v[100:101], v[100:101], v[108:109]
	v_add_f64 v[102:103], v[102:103], v[118:119]
	v_fma_f64 v[108:109], s[12:13], v[58:59], v[106:107]
	v_fma_f64 v[106:107], v[58:59], s[12:13], -v[106:107]
	v_fma_f64 v[118:119], s[22:23], v[58:59], v[56:57]
	v_fma_f64 v[56:57], v[58:59], s[22:23], -v[56:57]
	v_add_f64 v[54:55], v[64:65], v[54:55]
	v_mul_f64 v[58:59], v[52:53], s[20:21]
	v_fma_f64 v[60:61], s[18:19], v[54:55], v[58:59]
	v_fma_f64 v[58:59], v[54:55], s[18:19], -v[58:59]
	v_mul_f64 v[64:65], v[52:53], s[46:47]
	v_add_f64 v[60:61], v[60:61], v[68:69]
	v_add_f64 v[58:59], v[58:59], v[66:67]
	v_fma_f64 v[66:67], s[22:23], v[54:55], v[64:65]
	v_fma_f64 v[64:65], v[54:55], s[22:23], -v[64:65]
	v_mul_f64 v[68:69], v[52:53], s[40:41]
	v_add_f64 v[56:57], v[56:57], v[70:71]
	v_add_f64 v[64:65], v[64:65], v[74:75]
	v_fma_f64 v[70:71], s[14:15], v[54:55], v[68:69]
	v_fma_f64 v[68:69], v[54:55], s[14:15], -v[68:69]
	v_mul_f64 v[74:75], v[52:53], s[34:35]
	v_add_f64 v[44:45], v[44:45], -v[48:49]
	v_add_f64 v[66:67], v[66:67], v[76:77]
	v_add_f64 v[68:69], v[68:69], v[78:79]
	v_fma_f64 v[76:77], s[8:9], v[54:55], v[74:75]
	v_fma_f64 v[74:75], v[54:55], s[8:9], -v[74:75]
	v_mul_f64 v[78:79], v[52:53], s[44:45]
	v_mul_f64 v[52:53], v[52:53], s[42:43]
	v_add_f64 v[46:47], v[46:47], v[50:51]
	v_mul_f64 v[48:49], v[44:45], s[24:25]
	v_add_f64 v[70:71], v[70:71], v[100:101]
	v_add_f64 v[74:75], v[74:75], v[102:103]
	v_fma_f64 v[100:101], s[26:27], v[54:55], v[78:79]
	v_fma_f64 v[78:79], v[54:55], s[26:27], -v[78:79]
	v_fma_f64 v[102:103], s[12:13], v[54:55], v[52:53]
	v_fma_f64 v[52:53], v[54:55], s[12:13], -v[52:53]
	;; [unrolled: 2-line block ×3, first 2 shown]
	v_mul_f64 v[54:55], v[44:45], s[38:39]
	v_add_f64 v[52:53], v[52:53], v[56:57]
	v_add_f64 v[48:49], v[48:49], v[58:59]
	v_fma_f64 v[56:57], s[8:9], v[46:47], v[54:55]
	v_fma_f64 v[54:55], v[46:47], s[8:9], -v[54:55]
	v_mul_f64 v[58:59], v[44:45], s[30:31]
	v_add_f64 v[50:51], v[50:51], v[60:61]
	v_add_f64 v[54:55], v[54:55], v[64:65]
	v_fma_f64 v[60:61], s[12:13], v[46:47], v[58:59]
	v_fma_f64 v[58:59], v[46:47], s[12:13], -v[58:59]
	v_mul_f64 v[64:65], v[44:45], s[44:45]
	v_add_f64 v[36:37], v[36:37], -v[40:41]
	v_add_f64 v[56:57], v[56:57], v[66:67]
	v_add_f64 v[58:59], v[58:59], v[68:69]
	v_fma_f64 v[66:67], s[26:27], v[46:47], v[64:65]
	v_fma_f64 v[64:65], v[46:47], s[26:27], -v[64:65]
	v_mul_f64 v[68:69], v[44:45], s[40:41]
	v_mul_f64 v[44:45], v[44:45], s[20:21]
	v_add_f64 v[38:39], v[38:39], v[42:43]
	v_mul_f64 v[40:41], v[36:37], s[28:29]
	v_add_f64 v[60:61], v[60:61], v[70:71]
	v_add_f64 v[64:65], v[64:65], v[74:75]
	v_fma_f64 v[70:71], s[14:15], v[46:47], v[68:69]
	v_fma_f64 v[68:69], v[46:47], s[14:15], -v[68:69]
	v_fma_f64 v[74:75], s[18:19], v[46:47], v[44:45]
	v_fma_f64 v[44:45], v[46:47], s[18:19], -v[44:45]
	;; [unrolled: 2-line block ×3, first 2 shown]
	v_mul_f64 v[46:47], v[36:37], s[40:41]
	v_add_f64 v[42:43], v[42:43], v[50:51]
	v_add_f64 v[40:41], v[40:41], v[48:49]
	v_fma_f64 v[48:49], s[14:15], v[38:39], v[46:47]
	v_fma_f64 v[46:47], v[38:39], s[14:15], -v[46:47]
	v_mul_f64 v[50:51], v[36:37], s[24:25]
	v_add_f64 v[124:125], v[124:125], v[132:133]
	v_add_f64 v[122:123], v[122:123], v[134:135]
	;; [unrolled: 1-line block ×5, first 2 shown]
	v_fma_f64 v[52:53], s[22:23], v[38:39], v[50:51]
	v_fma_f64 v[50:51], v[38:39], s[22:23], -v[50:51]
	v_mul_f64 v[54:55], v[36:37], s[42:43]
	v_add_f64 v[104:105], v[104:105], v[120:121]
	v_add_f64 v[108:109], v[108:109], v[124:125]
	;; [unrolled: 1-line block ×6, first 2 shown]
	v_fma_f64 v[56:57], s[12:13], v[38:39], v[54:55]
	v_fma_f64 v[54:55], v[38:39], s[12:13], -v[54:55]
	v_mul_f64 v[58:59], v[36:37], s[20:21]
	v_mul_f64 v[36:37], v[36:37], s[38:39]
	v_add_f64 v[76:77], v[76:77], v[104:105]
	v_add_f64 v[100:101], v[100:101], v[108:109]
	;; [unrolled: 1-line block ×5, first 2 shown]
	v_fma_f64 v[64:65], s[8:9], v[38:39], v[36:37]
	v_fma_f64 v[36:37], v[38:39], s[8:9], -v[36:37]
	v_add_f64 v[66:67], v[66:67], v[76:77]
	v_add_f64 v[70:71], v[70:71], v[100:101]
	;; [unrolled: 1-line block ×5, first 2 shown]
	v_fma_f64 v[60:61], s[18:19], v[38:39], v[58:59]
	v_fma_f64 v[58:59], v[38:39], s[18:19], -v[58:59]
	v_add_f64 v[36:37], v[36:37], v[44:45]
	v_add_f64 v[56:57], v[56:57], v[66:67]
	;; [unrolled: 1-line block ×5, first 2 shown]
	ds_write2_b64 v208, v[112:113], v[94:95] offset0:12 offset1:14
	ds_write2_b64 v208, v[116:117], v[114:115] offset0:16 offset1:18
	;; [unrolled: 1-line block ×3, first 2 shown]
	ds_write_b64 v208, v[96:97] offset:192
	ds_write2_b64 v136, v[98:99], v[42:43] offset1:2
	ds_write2_b64 v136, v[48:49], v[52:53] offset0:4 offset1:6
	ds_write2_b64 v136, v[56:57], v[60:61] offset0:8 offset1:10
	;; [unrolled: 1-line block ×5, first 2 shown]
	ds_write_b64 v136, v[40:41] offset:192
	v_mul_lo_u16_sdwa v36, v181, s0 dst_sel:DWORD dst_unused:UNUSED_PAD src0_sel:BYTE_0 src1_sel:DWORD
	v_lshrrev_b16_e32 v114, 11, v36
	v_mul_lo_u16_e32 v36, 26, v114
	v_sub_u16_e32 v115, v181, v36
	v_mov_b32_e32 v36, 12
	v_mul_u32_u24_sdwa v36, v115, v36 dst_sel:DWORD dst_unused:UNUSED_PAD src0_sel:BYTE_0 src1_sel:DWORD
	v_lshlrev_b32_e32 v112, 4, v36
	s_waitcnt lgkmcnt(0)
	; wave barrier
	s_waitcnt lgkmcnt(0)
	global_load_dwordx4 v[40:43], v112, s[4:5] offset:400
	global_load_dwordx4 v[44:47], v112, s[4:5] offset:416
	;; [unrolled: 1-line block ×4, first 2 shown]
	v_subrev_u32_e32 v174, 26, v180
	v_cmp_gt_u32_e64 s[0:1], 26, v180
	v_mov_b32_e32 v37, 0
	s_waitcnt vmcnt(3)
	v_mul_f64 v[106:107], v[32:33], v[42:43]
	v_cndmask_b32_e64 v116, v174, v180, s[0:1]
	v_mul_i32_i24_e32 v36, 12, v116
	v_lshl_add_u64 v[100:101], v[36:37], 4, s[4:5]
	global_load_dwordx4 v[64:67], v[100:101], off offset:480
	global_load_dwordx4 v[60:63], v112, s[4:5] offset:464
	global_load_dwordx4 v[68:71], v[100:101], off offset:496
	global_load_dwordx4 v[108:111], v112, s[4:5] offset:480
	;; [unrolled: 2-line block ×6, first 2 shown]
	ds_read2_b64 v[74:77], v195 offset0:4 offset1:108
	ds_read2_b64 v[122:125], v206 offset0:84 offset1:188
	;; [unrolled: 1-line block ×3, first 2 shown]
	s_waitcnt vmcnt(14)
	v_mul_f64 v[98:99], v[34:35], v[46:47]
	s_waitcnt vmcnt(13)
	v_mul_f64 v[94:95], v[28:29], v[54:55]
	s_waitcnt lgkmcnt(2)
	v_mul_f64 v[48:49], v[74:75], v[42:43]
	v_fma_f64 v[104:105], v[32:33], v[40:41], -v[48:49]
	global_load_dwordx4 v[48:51], v[100:101], off offset:384
	v_fmac_f64_e32 v[106:107], v[74:75], v[40:41]
	global_load_dwordx4 v[40:43], v[100:101], off offset:400
	v_mul_f64 v[32:33], v[76:77], v[46:47]
	v_fma_f64 v[96:97], v[34:35], v[44:45], -v[32:33]
	s_waitcnt lgkmcnt(1)
	v_mul_f64 v[32:33], v[122:123], v[54:55]
	v_fmac_f64_e32 v[98:99], v[76:77], v[44:45]
	v_fma_f64 v[78:79], v[28:29], v[52:53], -v[32:33]
	global_load_dwordx4 v[44:47], v[100:101], off offset:416
	global_load_dwordx4 v[32:35], v[100:101], off offset:432
	s_waitcnt vmcnt(16)
	v_mul_f64 v[28:29], v[124:125], v[58:59]
	v_fmac_f64_e32 v[94:95], v[122:123], v[52:53]
	v_fma_f64 v[74:75], v[30:31], v[56:57], -v[28:29]
	v_mul_f64 v[76:77], v[30:31], v[58:59]
	global_load_dwordx4 v[52:55], v[100:101], off offset:448
	v_fmac_f64_e32 v[76:77], v[124:125], v[56:57]
	global_load_dwordx4 v[36:39], v112, s[4:5] offset:384
	global_load_dwordx4 v[56:59], v112, s[4:5] offset:560
	s_waitcnt vmcnt(18) lgkmcnt(0)
	v_mul_f64 v[28:29], v[134:135], v[66:67]
	v_fma_f64 v[124:125], v[26:27], v[64:65], -v[28:29]
	v_mul_f64 v[126:127], v[26:27], v[66:67]
	global_load_dwordx4 v[26:29], v[100:101], off offset:464
	ds_read2_b64 v[100:103], v191 offset0:12 offset1:64
	s_waitcnt vmcnt(18)
	v_mul_f64 v[30:31], v[132:133], v[62:63]
	v_fmac_f64_e32 v[126:127], v[134:135], v[64:65]
	v_fma_f64 v[64:65], v[24:25], v[60:61], -v[30:31]
	v_mul_f64 v[62:63], v[24:25], v[62:63]
	s_waitcnt vmcnt(17) lgkmcnt(0)
	v_mul_f64 v[24:25], v[102:103], v[70:71]
	v_fmac_f64_e32 v[62:63], v[132:133], v[60:61]
	v_fma_f64 v[132:133], v[22:23], v[68:69], -v[24:25]
	v_mul_f64 v[134:135], v[22:23], v[70:71]
	ds_read2_b64 v[22:25], v191 offset0:116 offset1:168
	s_waitcnt vmcnt(16)
	v_mul_f64 v[30:31], v[100:101], v[110:111]
	v_fma_f64 v[60:61], v[20:21], v[108:109], -v[30:31]
	v_mul_f64 v[66:67], v[20:21], v[110:111]
	s_waitcnt vmcnt(15)
	v_mul_f64 v[138:139], v[18:19], v[120:121]
	s_waitcnt lgkmcnt(0)
	v_mul_f64 v[20:21], v[24:25], v[120:121]
	v_fma_f64 v[136:137], v[18:19], v[118:119], -v[20:21]
	ds_read2_b64 v[18:21], v194 offset0:92 offset1:144
	v_fmac_f64_e32 v[138:139], v[24:25], v[118:119]
	s_waitcnt vmcnt(14)
	v_mul_f64 v[24:25], v[22:23], v[142:143]
	v_fmac_f64_e32 v[134:135], v[102:103], v[68:69]
	v_fma_f64 v[68:69], v[16:17], v[140:141], -v[24:25]
	v_mul_f64 v[70:71], v[16:17], v[142:143]
	s_waitcnt vmcnt(13) lgkmcnt(0)
	v_mul_f64 v[16:17], v[20:21], v[146:147]
	v_fmac_f64_e32 v[70:71], v[22:23], v[140:141]
	v_fma_f64 v[140:141], v[14:15], v[144:145], -v[16:17]
	v_mul_f64 v[142:143], v[14:15], v[146:147]
	ds_read2_b64 v[14:17], v192 offset0:68 offset1:120
	v_fmac_f64_e32 v[142:143], v[20:21], v[144:145]
	s_waitcnt vmcnt(12)
	v_mul_f64 v[20:21], v[18:19], v[150:151]
	v_fmac_f64_e32 v[66:67], v[100:101], v[108:109]
	v_fma_f64 v[100:101], v[12:13], v[148:149], -v[20:21]
	v_mul_f64 v[102:103], v[12:13], v[150:151]
	s_waitcnt vmcnt(11) lgkmcnt(0)
	v_mul_f64 v[12:13], v[16:17], v[154:155]
	v_fmac_f64_e32 v[102:103], v[18:19], v[148:149]
	v_fma_f64 v[146:147], v[10:11], v[152:153], -v[12:13]
	v_mul_f64 v[148:149], v[10:11], v[154:155]
	ds_read2_b64 v[10:13], v192 offset0:172 offset1:224
	v_fmac_f64_e32 v[148:149], v[16:17], v[152:153]
	s_waitcnt vmcnt(10)
	v_mul_f64 v[16:17], v[14:15], v[158:159]
	v_fma_f64 v[108:109], v[8:9], v[156:157], -v[16:17]
	v_mul_f64 v[110:111], v[8:9], v[158:159]
	s_waitcnt vmcnt(9) lgkmcnt(0)
	v_mul_f64 v[8:9], v[12:13], v[162:163]
	v_fma_f64 v[150:151], v[6:7], v[160:161], -v[8:9]
	ds_read_b64 v[8:9], v200
	v_mul_f64 v[152:153], v[6:7], v[162:163]
	s_waitcnt vmcnt(8)
	v_mul_f64 v[6:7], v[10:11], v[166:167]
	v_fmac_f64_e32 v[152:153], v[12:13], v[160:161]
	v_fma_f64 v[112:113], v[4:5], v[164:165], -v[6:7]
	v_mul_f64 v[122:123], v[4:5], v[166:167]
	ds_read_b64 v[4:5], v201
	ds_read_b64 v[6:7], v189 offset:10400
	ds_read_b64 v[160:161], v193
	s_waitcnt vmcnt(7)
	v_mul_f64 v[172:173], v[92:93], v[50:51]
	v_fmac_f64_e32 v[122:123], v[10:11], v[164:165]
	s_waitcnt lgkmcnt(3)
	v_mul_f64 v[10:11], v[8:9], v[50:51]
	v_fmac_f64_e32 v[172:173], v[8:9], v[48:49]
	s_waitcnt vmcnt(6) lgkmcnt(2)
	v_mul_f64 v[8:9], v[4:5], v[42:43]
	v_fma_f64 v[166:167], v[90:91], v[40:41], -v[8:9]
	v_mul_f64 v[168:169], v[90:91], v[42:43]
	ds_read_b64 v[8:9], v202
	v_fma_f64 v[170:171], v[92:93], v[48:49], -v[10:11]
	v_fmac_f64_e32 v[168:169], v[4:5], v[40:41]
	ds_read_b64 v[4:5], v203
	ds_read_b64 v[10:11], v204
	;; [unrolled: 1-line block ×3, first 2 shown]
	ds_read2_b64 v[40:43], v189 offset1:156
	s_waitcnt vmcnt(5)
	v_mul_f64 v[164:165], v[88:89], v[46:47]
	s_waitcnt vmcnt(4)
	v_mul_f64 v[92:93], v[84:85], v[34:35]
	v_fmac_f64_e32 v[110:111], v[14:15], v[156:157]
	s_waitcnt lgkmcnt(4)
	v_mul_f64 v[14:15], v[8:9], v[46:47]
	v_fmac_f64_e32 v[164:165], v[8:9], v[44:45]
	s_waitcnt lgkmcnt(3)
	v_mul_f64 v[8:9], v[4:5], v[34:35]
	v_fmac_f64_e32 v[92:93], v[4:5], v[32:33]
	s_waitcnt vmcnt(3) lgkmcnt(2)
	v_mul_f64 v[4:5], v[10:11], v[54:55]
	v_fma_f64 v[162:163], v[88:89], v[44:45], -v[14:15]
	v_fma_f64 v[88:89], v[82:83], v[52:53], -v[4:5]
	v_mul_f64 v[54:55], v[82:83], v[54:55]
	s_waitcnt vmcnt(1)
	v_mul_f64 v[46:47], v[86:87], v[58:59]
	v_fmac_f64_e32 v[54:55], v[10:11], v[52:53]
	v_fmac_f64_e32 v[46:47], v[6:7], v[56:57]
	v_fma_f64 v[90:91], v[84:85], v[32:33], -v[8:9]
	v_add_f64 v[34:35], v[164:165], -v[142:143]
	v_add_f64 v[84:85], v[54:55], -v[134:135]
	s_waitcnt vmcnt(0) lgkmcnt(1)
	v_mul_f64 v[4:5], v[12:13], v[28:29]
	v_fma_f64 v[50:51], v[80:81], v[26:27], -v[4:5]
	v_mul_f64 v[4:5], v[6:7], v[58:59]
	v_fma_f64 v[44:45], v[86:87], v[56:57], -v[4:5]
	s_waitcnt lgkmcnt(0)
	v_mul_f64 v[4:5], v[42:43], v[38:39]
	v_fma_f64 v[48:49], v[2:3], v[36:37], -v[4:5]
	v_add_f64 v[4:5], v[172:173], -v[152:153]
	v_mul_f64 v[52:53], v[80:81], v[28:29]
	v_mul_f64 v[38:39], v[2:3], v[38:39]
	v_add_f64 v[2:3], v[170:171], v[150:151]
	v_mul_f64 v[6:7], v[4:5], s[36:37]
	v_mul_f64 v[10:11], v[4:5], s[30:31]
	;; [unrolled: 1-line block ×6, first 2 shown]
	v_fmac_f64_e32 v[52:53], v[12:13], v[26:27]
	v_fma_f64 v[8:9], v[2:3], s[14:15], -v[6:7]
	v_fmac_f64_e32 v[6:7], s[14:15], v[2:3]
	v_fma_f64 v[12:13], v[2:3], s[12:13], -v[10:11]
	;; [unrolled: 2-line block ×6, first 2 shown]
	v_fmac_f64_e32 v[4:5], s[26:27], v[2:3]
	v_add_f64 v[2:3], v[0:1], v[8:9]
	v_add_f64 v[6:7], v[0:1], v[6:7]
	;; [unrolled: 1-line block ×13, first 2 shown]
	v_add_f64 v[28:29], v[168:169], -v[148:149]
	v_add_f64 v[0:1], v[0:1], v[166:167]
	v_add_f64 v[26:27], v[166:167], v[146:147]
	v_mul_f64 v[30:31], v[28:29], s[30:31]
	v_add_f64 v[0:1], v[0:1], v[162:163]
	v_fma_f64 v[32:33], v[26:27], s[12:13], -v[30:31]
	v_add_f64 v[0:1], v[0:1], v[90:91]
	v_fmac_f64_e32 v[38:39], v[42:43], v[36:37]
	v_add_f64 v[2:3], v[32:33], v[2:3]
	v_add_f64 v[32:33], v[162:163], v[140:141]
	v_mul_f64 v[36:37], v[34:35], s[34:35]
	v_add_f64 v[58:59], v[92:93], -v[138:139]
	v_add_f64 v[0:1], v[0:1], v[88:89]
	v_fma_f64 v[42:43], v[32:33], s[8:9], -v[36:37]
	v_add_f64 v[56:57], v[90:91], v[136:137]
	v_mul_f64 v[80:81], v[58:59], s[20:21]
	v_add_f64 v[0:1], v[0:1], v[50:51]
	v_add_f64 v[2:3], v[42:43], v[2:3]
	v_fma_f64 v[42:43], v[56:57], s[18:19], -v[80:81]
	v_add_f64 v[82:83], v[88:89], v[132:133]
	v_mul_f64 v[86:87], v[84:85], s[24:25]
	v_add_f64 v[120:121], v[52:53], -v[126:127]
	v_add_f64 v[0:1], v[0:1], v[124:125]
	v_add_f64 v[2:3], v[42:43], v[2:3]
	v_fma_f64 v[42:43], v[82:83], s[22:23], -v[86:87]
	v_add_f64 v[118:119], v[50:51], v[124:125]
	v_mul_f64 v[144:145], v[120:121], s[28:29]
	v_add_f64 v[0:1], v[0:1], v[132:133]
	v_add_f64 v[2:3], v[42:43], v[2:3]
	v_fma_f64 v[42:43], v[118:119], s[26:27], -v[144:145]
	v_add_f64 v[0:1], v[0:1], v[136:137]
	v_add_f64 v[2:3], v[42:43], v[2:3]
	v_mov_b32_e32 v42, 0xa90
	v_add_f64 v[0:1], v[0:1], v[140:141]
	v_cndmask_b32_e64 v42, 0, v42, s[2:3]
	v_lshlrev_b32_e32 v43, 3, v116
	v_add_f64 v[0:1], v[0:1], v[146:147]
	v_add3_u32 v42, 0, v42, v43
	v_add_f64 v[0:1], v[0:1], v[150:151]
	s_waitcnt lgkmcnt(0)
	; wave barrier
	ds_write2_b64 v42, v[0:1], v[2:3] offset1:26
	v_mul_f64 v[0:1], v[28:29], s[20:21]
	v_fma_f64 v[2:3], v[26:27], s[18:19], -v[0:1]
	v_add_f64 v[2:3], v[2:3], v[8:9]
	v_mul_f64 v[8:9], v[28:29], s[28:29]
	v_fma_f64 v[116:117], v[26:27], s[26:27], -v[8:9]
	v_add_f64 v[12:13], v[116:117], v[12:13]
	;; [unrolled: 3-line block ×10, first 2 shown]
	ds_write2_b64 v42, v[2:3], v[12:13] offset0:52 offset1:78
	v_mul_f64 v[2:3], v[28:29], s[46:47]
	v_fma_f64 v[12:13], v[26:27], s[22:23], -v[2:3]
	v_add_f64 v[12:13], v[12:13], v[16:17]
	v_mul_f64 v[16:17], v[28:29], s[38:39]
	v_fma_f64 v[206:207], v[26:27], s[8:9], -v[16:17]
	v_add_f64 v[20:21], v[206:207], v[20:21]
	;; [unrolled: 3-line block ×10, first 2 shown]
	ds_write2_b64 v42, v[12:13], v[20:21] offset0:104 offset1:130
	v_mul_f64 v[12:13], v[28:29], s[40:41]
	v_fma_f64 v[20:21], v[26:27], s[14:15], -v[12:13]
	v_fmac_f64_e32 v[12:13], s[14:15], v[26:27]
	v_add_f64 v[4:5], v[12:13], v[4:5]
	v_mul_f64 v[12:13], v[34:35], s[24:25]
	v_add_f64 v[20:21], v[20:21], v[24:25]
	v_fma_f64 v[24:25], v[32:33], s[22:23], -v[12:13]
	v_fmac_f64_e32 v[12:13], s[22:23], v[32:33]
	v_add_f64 v[4:5], v[12:13], v[4:5]
	v_mul_f64 v[12:13], v[58:59], s[42:43]
	v_add_f64 v[20:21], v[24:25], v[20:21]
	;; [unrolled: 5-line block ×4, first 2 shown]
	v_fma_f64 v[24:25], v[118:119], s[8:9], -v[12:13]
	v_fmac_f64_e32 v[12:13], s[8:9], v[118:119]
	v_add_f64 v[20:21], v[24:25], v[20:21]
	v_add_f64 v[4:5], v[12:13], v[4:5]
	v_fmac_f64_e32 v[2:3], s[22:23], v[26:27]
	v_fmac_f64_e32 v[16:17], s[8:9], v[26:27]
	ds_write2_b64 v42, v[20:21], v[4:5] offset0:156 offset1:182
	v_add_f64 v[2:3], v[2:3], v[18:19]
	v_add_f64 v[4:5], v[16:17], v[22:23]
	v_fmac_f64_e32 v[206:207], s[14:15], v[32:33]
	v_fmac_f64_e32 v[208:209], s[12:13], v[32:33]
	v_add_f64 v[2:3], v[206:207], v[2:3]
	v_add_f64 v[4:5], v[208:209], v[4:5]
	v_fmac_f64_e32 v[210:211], s[8:9], v[56:57]
	v_fmac_f64_e32 v[212:213], s[26:27], v[56:57]
	;; [unrolled: 4-line block ×5, first 2 shown]
	ds_write2_b64 v42, v[4:5], v[2:3] offset0:208 offset1:234
	v_add_f64 v[0:1], v[0:1], v[10:11]
	v_add_f64 v[2:3], v[8:9], v[14:15]
	v_fmac_f64_e32 v[116:117], s[26:27], v[32:33]
	v_fmac_f64_e32 v[154:155], s[18:19], v[32:33]
	v_add_f64 v[0:1], v[116:117], v[0:1]
	v_add_f64 v[2:3], v[154:155], v[2:3]
	v_fmac_f64_e32 v[156:157], s[22:23], v[56:57]
	v_fmac_f64_e32 v[158:159], s[14:15], v[56:57]
	;; [unrolled: 4-line block ×4, first 2 shown]
	v_add_f64 v[0:1], v[202:203], v[0:1]
	v_add_f64 v[2:3], v[204:205], v[2:3]
	v_add_u32_e32 v43, 0x800, v42
	v_fmac_f64_e32 v[30:31], s[12:13], v[26:27]
	v_add_f64 v[4:5], v[38:39], -v[46:47]
	ds_write2_b64 v43, v[2:3], v[0:1] offset0:4 offset1:30
	v_add_f64 v[0:1], v[30:31], v[6:7]
	v_add_f64 v[2:3], v[48:49], v[44:45]
	v_mul_f64 v[6:7], v[4:5], s[36:37]
	v_add_f64 v[12:13], v[106:107], -v[122:123]
	v_fma_f64 v[8:9], v[2:3], s[14:15], -v[6:7]
	v_add_f64 v[10:11], v[104:105], v[112:113]
	v_mul_f64 v[14:15], v[12:13], s[30:31]
	v_add_f64 v[8:9], v[72:73], v[8:9]
	v_fma_f64 v[16:17], v[10:11], s[12:13], -v[14:15]
	v_add_f64 v[18:19], v[98:99], -v[110:111]
	v_add_f64 v[8:9], v[16:17], v[8:9]
	v_add_f64 v[16:17], v[96:97], v[108:109]
	v_mul_f64 v[20:21], v[18:19], s[34:35]
	v_fmac_f64_e32 v[36:37], s[8:9], v[32:33]
	v_fma_f64 v[22:23], v[16:17], s[8:9], -v[20:21]
	v_add_f64 v[24:25], v[94:95], -v[102:103]
	v_add_f64 v[0:1], v[36:37], v[0:1]
	v_fmac_f64_e32 v[80:81], s[18:19], v[56:57]
	v_add_f64 v[8:9], v[22:23], v[8:9]
	v_add_f64 v[22:23], v[78:79], v[100:101]
	v_mul_f64 v[26:27], v[24:25], s[20:21]
	v_add_f64 v[0:1], v[80:81], v[0:1]
	v_fmac_f64_e32 v[86:87], s[22:23], v[82:83]
	v_fma_f64 v[28:29], v[22:23], s[18:19], -v[26:27]
	v_add_f64 v[30:31], v[76:77], -v[70:71]
	v_add_f64 v[0:1], v[86:87], v[0:1]
	v_fmac_f64_e32 v[144:145], s[26:27], v[118:119]
	v_add_f64 v[8:9], v[28:29], v[8:9]
	v_add_f64 v[28:29], v[74:75], v[68:69]
	v_mul_f64 v[32:33], v[30:31], s[24:25]
	v_add_f64 v[0:1], v[144:145], v[0:1]
	v_fma_f64 v[34:35], v[28:29], s[22:23], -v[32:33]
	v_add_f64 v[36:37], v[62:63], -v[66:67]
	v_add_f64 v[8:9], v[34:35], v[8:9]
	v_add_f64 v[34:35], v[64:65], v[60:61]
	v_mul_f64 v[58:59], v[36:37], s[28:29]
	ds_write_b64 v42, v[0:1] offset:2496
	v_mov_b32_e32 v0, 3
	v_fma_f64 v[56:57], v[34:35], s[26:27], -v[58:59]
	v_lshlrev_b32_sdwa v0, v0, v115 dst_sel:DWORD dst_unused:UNUSED_PAD src0_sel:DWORD src1_sel:BYTE_0
	v_mul_u32_u24_e32 v1, 0xa90, v114
	v_add_f64 v[8:9], v[56:57], v[8:9]
	v_add3_u32 v56, 0, v1, v0
	v_add_f64 v[0:1], v[72:73], v[48:49]
	v_add_f64 v[0:1], v[0:1], v[104:105]
	;; [unrolled: 1-line block ×12, first 2 shown]
	ds_write2_b64 v56, v[0:1], v[8:9] offset1:26
	v_mul_f64 v[0:1], v[4:5], s[30:31]
	v_fma_f64 v[8:9], v[2:3], s[12:13], -v[0:1]
	v_mul_f64 v[80:81], v[12:13], s[20:21]
	v_add_f64 v[8:9], v[72:73], v[8:9]
	v_fma_f64 v[82:83], v[10:11], s[18:19], -v[80:81]
	v_add_f64 v[8:9], v[82:83], v[8:9]
	v_mul_f64 v[82:83], v[4:5], s[34:35]
	v_fma_f64 v[84:85], v[2:3], s[8:9], -v[82:83]
	v_mul_f64 v[86:87], v[12:13], s[28:29]
	v_add_f64 v[84:85], v[72:73], v[84:85]
	v_fma_f64 v[114:115], v[10:11], s[26:27], -v[86:87]
	v_add_f64 v[84:85], v[114:115], v[84:85]
	v_mul_f64 v[114:115], v[18:19], s[28:29]
	v_fma_f64 v[116:117], v[16:17], s[26:27], -v[114:115]
	v_add_f64 v[8:9], v[116:117], v[8:9]
	v_mul_f64 v[116:117], v[18:19], s[48:49]
	;; [unrolled: 3-line block ×8, first 2 shown]
	v_fma_f64 v[176:177], v[34:35], s[22:23], -v[158:159]
	v_add_f64 v[84:85], v[176:177], v[84:85]
	ds_write2_b64 v56, v[8:9], v[84:85] offset0:52 offset1:78
	v_mul_f64 v[8:9], v[4:5], s[20:21]
	v_fma_f64 v[84:85], v[2:3], s[18:19], -v[8:9]
	v_mul_f64 v[176:177], v[12:13], s[46:47]
	v_add_f64 v[84:85], v[72:73], v[84:85]
	v_fma_f64 v[178:179], v[10:11], s[22:23], -v[176:177]
	v_add_f64 v[84:85], v[178:179], v[84:85]
	v_mul_f64 v[178:179], v[4:5], s[24:25]
	v_fma_f64 v[202:203], v[2:3], s[22:23], -v[178:179]
	v_mul_f64 v[204:205], v[12:13], s[38:39]
	v_add_f64 v[202:203], v[72:73], v[202:203]
	v_fma_f64 v[206:207], v[10:11], s[8:9], -v[204:205]
	v_add_f64 v[202:203], v[206:207], v[202:203]
	v_mul_f64 v[206:207], v[18:19], s[40:41]
	v_fma_f64 v[208:209], v[16:17], s[14:15], -v[206:207]
	v_add_f64 v[84:85], v[208:209], v[84:85]
	v_mul_f64 v[208:209], v[18:19], s[30:31]
	;; [unrolled: 3-line block ×9, first 2 shown]
	ds_write2_b64 v56, v[84:85], v[202:203] offset0:104 offset1:130
	v_fma_f64 v[84:85], v[2:3], s[26:27], -v[4:5]
	v_mul_f64 v[12:13], v[12:13], s[40:41]
	v_fmac_f64_e32 v[4:5], s[26:27], v[2:3]
	v_fma_f64 v[202:203], v[10:11], s[14:15], -v[12:13]
	v_add_f64 v[4:5], v[72:73], v[4:5]
	v_fmac_f64_e32 v[12:13], s[14:15], v[10:11]
	v_add_f64 v[4:5], v[12:13], v[4:5]
	v_mul_f64 v[12:13], v[18:19], s[24:25]
	v_fma_f64 v[18:19], v[16:17], s[22:23], -v[12:13]
	v_fmac_f64_e32 v[12:13], s[22:23], v[16:17]
	v_add_f64 v[84:85], v[72:73], v[84:85]
	v_add_f64 v[4:5], v[12:13], v[4:5]
	v_mul_f64 v[12:13], v[24:25], s[42:43]
	v_add_f64 v[84:85], v[202:203], v[84:85]
	v_fma_f64 v[24:25], v[22:23], s[12:13], -v[12:13]
	v_fmac_f64_e32 v[12:13], s[12:13], v[22:23]
	v_add_f64 v[18:19], v[18:19], v[84:85]
	v_add_f64 v[4:5], v[12:13], v[4:5]
	v_mul_f64 v[12:13], v[30:31], s[20:21]
	v_add_f64 v[18:19], v[24:25], v[18:19]
	v_fma_f64 v[24:25], v[28:29], s[18:19], -v[12:13]
	v_fmac_f64_e32 v[12:13], s[18:19], v[28:29]
	v_add_f64 v[4:5], v[12:13], v[4:5]
	v_mul_f64 v[12:13], v[36:37], s[38:39]
	v_add_f64 v[18:19], v[24:25], v[18:19]
	v_fma_f64 v[24:25], v[34:35], s[8:9], -v[12:13]
	v_fmac_f64_e32 v[12:13], s[8:9], v[34:35]
	v_add_f64 v[18:19], v[24:25], v[18:19]
	v_add_f64 v[4:5], v[12:13], v[4:5]
	v_fmac_f64_e32 v[8:9], s[18:19], v[2:3]
	v_fmac_f64_e32 v[178:179], s[22:23], v[2:3]
	ds_write2_b64 v56, v[18:19], v[4:5] offset0:156 offset1:182
	v_add_f64 v[4:5], v[72:73], v[8:9]
	v_fmac_f64_e32 v[176:177], s[22:23], v[10:11]
	v_add_f64 v[8:9], v[72:73], v[178:179]
	v_fmac_f64_e32 v[204:205], s[8:9], v[10:11]
	v_add_f64 v[4:5], v[176:177], v[4:5]
	v_add_f64 v[8:9], v[204:205], v[8:9]
	v_fmac_f64_e32 v[206:207], s[14:15], v[16:17]
	v_fmac_f64_e32 v[208:209], s[12:13], v[16:17]
	v_add_f64 v[4:5], v[206:207], v[4:5]
	v_add_f64 v[8:9], v[208:209], v[8:9]
	v_fmac_f64_e32 v[210:211], s[8:9], v[22:23]
	;; [unrolled: 4-line block ×5, first 2 shown]
	v_fmac_f64_e32 v[82:83], s[8:9], v[2:3]
	ds_write2_b64 v56, v[8:9], v[4:5] offset0:208 offset1:234
	v_fmac_f64_e32 v[6:7], s[14:15], v[2:3]
	v_add_f64 v[0:1], v[72:73], v[0:1]
	v_add_f64 v[4:5], v[72:73], v[82:83]
	v_fmac_f64_e32 v[80:81], s[18:19], v[10:11]
	v_fmac_f64_e32 v[86:87], s[26:27], v[10:11]
	v_add_f64 v[2:3], v[72:73], v[6:7]
	v_fmac_f64_e32 v[14:15], s[12:13], v[10:11]
	v_add_f64 v[0:1], v[80:81], v[0:1]
	v_add_f64 v[4:5], v[86:87], v[4:5]
	v_fmac_f64_e32 v[114:115], s[26:27], v[16:17]
	v_fmac_f64_e32 v[116:117], s[18:19], v[16:17]
	v_add_f64 v[2:3], v[14:15], v[2:3]
	;; [unrolled: 6-line block ×5, first 2 shown]
	v_fmac_f64_e32 v[58:59], s[26:27], v[34:35]
	v_add_f64 v[116:117], v[156:157], v[0:1]
	v_add_f64 v[0:1], v[158:159], v[4:5]
	v_add_u32_e32 v57, 0x800, v56
	v_add_f64 v[114:115], v[58:59], v[2:3]
	ds_write2_b64 v57, v[0:1], v[116:117] offset0:4 offset1:30
	ds_write_b64 v56, v[114:115] offset:2496
	s_waitcnt lgkmcnt(0)
	; wave barrier
	s_waitcnt lgkmcnt(0)
	v_lshl_add_u32 v58, v183, 3, 0
	ds_read_b64 v[156:157], v200
	ds_read_b64 v[84:85], v201
	v_lshl_add_u32 v59, v185, 3, 0
	ds_read_b64 v[144:145], v189
	ds_read_b64 v[154:155], v193
	;; [unrolled: 1-line block ×4, first 2 shown]
	ds_read2_b64 v[4:7], v195 offset0:82 offset1:134
	ds_read2_b64 v[8:11], v190 offset0:164 offset1:216
	;; [unrolled: 1-line block ×9, first 2 shown]
	v_sub_u32_e32 v36, 0, v199
	v_add_u32_e32 v80, v196, v36
	v_sub_u32_e32 v73, 0, v197
	v_sub_u32_e32 v72, 0, v198
                                        ; implicit-def: $vgpr118_vgpr119
                                        ; implicit-def: $vgpr120_vgpr121
	s_and_saveexec_b64 s[2:3], s[0:1]
	s_cbranch_execz .LBB0_15
; %bb.14:
	ds_read_b64 v[114:115], v189 offset:5200
	ds_read_b64 v[118:119], v189 offset:7904
	ds_read_b64 v[116:117], v80
	ds_read_b64 v[120:121], v189 offset:10608
.LBB0_15:
	s_or_b64 exec, exec, s[2:3]
	v_add_f64 v[36:37], v[40:41], v[172:173]
	v_add_f64 v[36:37], v[36:37], v[168:169]
	;; [unrolled: 1-line block ×11, first 2 shown]
	v_add_f64 v[150:151], v[170:171], -v[150:151]
	v_add_f64 v[36:37], v[36:37], v[152:153]
	v_add_f64 v[82:83], v[172:173], v[152:153]
	v_mul_f64 v[152:153], v[150:151], s[36:37]
	v_mul_f64 v[172:173], v[150:151], s[30:31]
	v_mul_f64 v[178:179], v[150:151], s[34:35]
	v_mul_f64 v[198:199], v[150:151], s[20:21]
	v_mul_f64 v[202:203], v[150:151], s[24:25]
	v_mul_f64 v[150:151], v[150:151], s[28:29]
	v_fma_f64 v[170:171], s[14:15], v[82:83], v[152:153]
	v_fma_f64 v[152:153], v[82:83], s[14:15], -v[152:153]
	v_fma_f64 v[176:177], s[12:13], v[82:83], v[172:173]
	v_fma_f64 v[172:173], v[82:83], s[12:13], -v[172:173]
	;; [unrolled: 2-line block ×6, first 2 shown]
	v_add_f64 v[146:147], v[166:167], -v[146:147]
	v_add_f64 v[170:171], v[40:41], v[170:171]
	v_add_f64 v[152:153], v[40:41], v[152:153]
	;; [unrolled: 1-line block ×13, first 2 shown]
	v_mul_f64 v[148:149], v[146:147], s[30:31]
	v_fma_f64 v[150:151], s[12:13], v[82:83], v[148:149]
	v_fma_f64 v[148:149], v[82:83], s[12:13], -v[148:149]
	v_add_f64 v[148:149], v[148:149], v[152:153]
	v_mul_f64 v[152:153], v[146:147], s[20:21]
	v_fma_f64 v[166:167], s[18:19], v[82:83], v[152:153]
	v_fma_f64 v[152:153], v[82:83], s[18:19], -v[152:153]
	v_mul_f64 v[168:169], v[146:147], s[28:29]
	v_add_f64 v[150:151], v[150:151], v[170:171]
	v_add_f64 v[152:153], v[152:153], v[172:173]
	v_fma_f64 v[170:171], s[26:27], v[82:83], v[168:169]
	v_fma_f64 v[168:169], v[82:83], s[26:27], -v[168:169]
	v_mul_f64 v[172:173], v[146:147], s[46:47]
	v_add_f64 v[166:167], v[166:167], v[176:177]
	v_add_f64 v[168:169], v[168:169], v[178:179]
	v_fma_f64 v[176:177], s[22:23], v[82:83], v[172:173]
	v_fma_f64 v[172:173], v[82:83], s[22:23], -v[172:173]
	v_mul_f64 v[178:179], v[146:147], s[38:39]
	v_mul_f64 v[146:147], v[146:147], s[40:41]
	v_add_f64 v[170:171], v[170:171], v[196:197]
	v_add_f64 v[172:173], v[172:173], v[198:199]
	v_fma_f64 v[196:197], s[8:9], v[82:83], v[178:179]
	v_fma_f64 v[178:179], v[82:83], s[8:9], -v[178:179]
	v_fma_f64 v[198:199], s[14:15], v[82:83], v[146:147]
	v_fma_f64 v[82:83], v[82:83], s[14:15], -v[146:147]
	v_add_f64 v[140:141], v[162:163], -v[140:141]
	v_add_f64 v[40:41], v[82:83], v[40:41]
	v_add_f64 v[82:83], v[164:165], v[142:143]
	v_mul_f64 v[142:143], v[140:141], s[34:35]
	v_fma_f64 v[146:147], s[8:9], v[82:83], v[142:143]
	v_fma_f64 v[142:143], v[82:83], s[8:9], -v[142:143]
	v_add_f64 v[142:143], v[142:143], v[148:149]
	v_mul_f64 v[148:149], v[140:141], s[28:29]
	v_add_f64 v[146:147], v[146:147], v[150:151]
	v_fma_f64 v[150:151], s[26:27], v[82:83], v[148:149]
	v_fma_f64 v[148:149], v[82:83], s[26:27], -v[148:149]
	v_add_f64 v[148:149], v[148:149], v[152:153]
	v_mul_f64 v[152:153], v[140:141], s[48:49]
	v_fma_f64 v[162:163], s[18:19], v[82:83], v[152:153]
	v_fma_f64 v[152:153], v[82:83], s[18:19], -v[152:153]
	v_mul_f64 v[164:165], v[140:141], s[40:41]
	v_add_f64 v[150:151], v[150:151], v[166:167]
	v_add_f64 v[152:153], v[152:153], v[168:169]
	v_fma_f64 v[166:167], s[14:15], v[82:83], v[164:165]
	v_fma_f64 v[164:165], v[82:83], s[14:15], -v[164:165]
	v_mul_f64 v[168:169], v[140:141], s[30:31]
	v_mul_f64 v[140:141], v[140:141], s[24:25]
	v_add_f64 v[162:163], v[162:163], v[170:171]
	v_add_f64 v[164:165], v[164:165], v[172:173]
	v_fma_f64 v[170:171], s[12:13], v[82:83], v[168:169]
	v_fma_f64 v[168:169], v[82:83], s[12:13], -v[168:169]
	v_fma_f64 v[172:173], s[22:23], v[82:83], v[140:141]
	v_fma_f64 v[82:83], v[82:83], s[22:23], -v[140:141]
	v_add_f64 v[90:91], v[90:91], -v[136:137]
	v_add_f64 v[40:41], v[82:83], v[40:41]
	v_add_f64 v[82:83], v[92:93], v[138:139]
	v_mul_f64 v[92:93], v[90:91], s[20:21]
	v_fma_f64 v[136:137], s[18:19], v[82:83], v[92:93]
	v_fma_f64 v[92:93], v[82:83], s[18:19], -v[92:93]
	v_mul_f64 v[138:139], v[90:91], s[46:47]
	v_add_f64 v[92:93], v[92:93], v[142:143]
	v_fma_f64 v[140:141], s[22:23], v[82:83], v[138:139]
	v_fma_f64 v[138:139], v[82:83], s[22:23], -v[138:139]
	v_mul_f64 v[142:143], v[90:91], s[40:41]
	v_add_f64 v[136:137], v[136:137], v[146:147]
	v_add_f64 v[138:139], v[138:139], v[148:149]
	v_fma_f64 v[146:147], s[14:15], v[82:83], v[142:143]
	v_fma_f64 v[142:143], v[82:83], s[14:15], -v[142:143]
	v_mul_f64 v[148:149], v[90:91], s[34:35]
	v_add_f64 v[140:141], v[140:141], v[150:151]
	v_add_f64 v[142:143], v[142:143], v[152:153]
	v_fma_f64 v[150:151], s[8:9], v[82:83], v[148:149]
	v_fma_f64 v[148:149], v[82:83], s[8:9], -v[148:149]
	v_mul_f64 v[152:153], v[90:91], s[44:45]
	v_mul_f64 v[90:91], v[90:91], s[42:43]
	v_add_f64 v[146:147], v[146:147], v[162:163]
	v_add_f64 v[148:149], v[148:149], v[164:165]
	v_fma_f64 v[162:163], s[26:27], v[82:83], v[152:153]
	v_fma_f64 v[152:153], v[82:83], s[26:27], -v[152:153]
	v_fma_f64 v[164:165], s[12:13], v[82:83], v[90:91]
	v_fma_f64 v[82:83], v[82:83], s[12:13], -v[90:91]
	v_add_f64 v[40:41], v[82:83], v[40:41]
	v_add_f64 v[82:83], v[88:89], -v[132:133]
	v_add_f64 v[54:55], v[54:55], v[134:135]
	v_mul_f64 v[88:89], v[82:83], s[24:25]
	v_fma_f64 v[90:91], s[22:23], v[54:55], v[88:89]
	v_fma_f64 v[88:89], v[54:55], s[22:23], -v[88:89]
	v_add_f64 v[88:89], v[88:89], v[92:93]
	v_mul_f64 v[92:93], v[82:83], s[38:39]
	v_fma_f64 v[132:133], s[8:9], v[54:55], v[92:93]
	v_fma_f64 v[92:93], v[54:55], s[8:9], -v[92:93]
	v_mul_f64 v[134:135], v[82:83], s[30:31]
	v_add_f64 v[90:91], v[90:91], v[136:137]
	v_add_f64 v[92:93], v[92:93], v[138:139]
	v_fma_f64 v[136:137], s[12:13], v[54:55], v[134:135]
	v_fma_f64 v[134:135], v[54:55], s[12:13], -v[134:135]
	v_mul_f64 v[138:139], v[82:83], s[44:45]
	v_add_f64 v[132:133], v[132:133], v[140:141]
	v_add_f64 v[134:135], v[134:135], v[142:143]
	v_fma_f64 v[140:141], s[26:27], v[54:55], v[138:139]
	v_fma_f64 v[138:139], v[54:55], s[26:27], -v[138:139]
	v_mul_f64 v[142:143], v[82:83], s[40:41]
	v_mul_f64 v[82:83], v[82:83], s[20:21]
	v_add_f64 v[136:137], v[136:137], v[146:147]
	v_add_f64 v[138:139], v[138:139], v[148:149]
	v_fma_f64 v[146:147], s[14:15], v[54:55], v[142:143]
	v_fma_f64 v[142:143], v[54:55], s[14:15], -v[142:143]
	v_fma_f64 v[148:149], s[18:19], v[54:55], v[82:83]
	v_fma_f64 v[54:55], v[54:55], s[18:19], -v[82:83]
	v_add_f64 v[50:51], v[50:51], -v[124:125]
	v_add_f64 v[40:41], v[54:55], v[40:41]
	v_add_f64 v[52:53], v[52:53], v[126:127]
	v_mul_f64 v[54:55], v[50:51], s[28:29]
	v_fma_f64 v[82:83], s[26:27], v[52:53], v[54:55]
	v_fma_f64 v[54:55], v[52:53], s[26:27], -v[54:55]
	v_add_f64 v[54:55], v[54:55], v[88:89]
	v_mul_f64 v[88:89], v[50:51], s[40:41]
	v_add_f64 v[82:83], v[82:83], v[90:91]
	v_fma_f64 v[90:91], s[14:15], v[52:53], v[88:89]
	v_fma_f64 v[88:89], v[52:53], s[14:15], -v[88:89]
	v_add_f64 v[88:89], v[88:89], v[92:93]
	v_mul_f64 v[92:93], v[50:51], s[24:25]
	v_fma_f64 v[124:125], s[22:23], v[52:53], v[92:93]
	v_add_f64 v[178:179], v[178:179], v[202:203]
	v_add_f64 v[126:127], v[124:125], v[136:137]
	v_mul_f64 v[124:125], v[50:51], s[42:43]
	v_add_f64 v[168:169], v[168:169], v[178:179]
	v_add_f64 v[90:91], v[90:91], v[132:133]
	v_fma_f64 v[92:93], v[52:53], s[22:23], -v[92:93]
	v_fma_f64 v[132:133], s[12:13], v[52:53], v[124:125]
	v_fma_f64 v[124:125], v[52:53], s[12:13], -v[124:125]
	v_add_f64 v[152:153], v[152:153], v[168:169]
	v_add_f64 v[92:93], v[92:93], v[134:135]
	;; [unrolled: 1-line block ×3, first 2 shown]
	v_mul_f64 v[124:125], v[50:51], s[20:21]
	v_add_f64 v[142:143], v[142:143], v[152:153]
	v_fma_f64 v[136:137], s[18:19], v[52:53], v[124:125]
	v_fma_f64 v[124:125], v[52:53], s[18:19], -v[124:125]
	v_mul_f64 v[50:51], v[50:51], s[38:39]
	v_add_f64 v[138:139], v[124:125], v[142:143]
	v_fma_f64 v[124:125], s[8:9], v[52:53], v[50:51]
	v_fma_f64 v[50:51], v[52:53], s[8:9], -v[50:51]
	v_add_f64 v[40:41], v[50:51], v[40:41]
	v_add_f64 v[50:51], v[160:161], v[38:39]
	;; [unrolled: 1-line block ×23, first 2 shown]
	v_add_f64 v[44:45], v[48:49], -v[44:45]
	v_add_f64 v[146:147], v[146:147], v[162:163]
	v_add_f64 v[132:133], v[132:133], v[140:141]
	;; [unrolled: 1-line block ×5, first 2 shown]
	v_mul_f64 v[46:47], v[44:45], s[36:37]
	v_mul_f64 v[52:53], v[44:45], s[30:31]
	v_mul_f64 v[142:143], v[44:45], s[34:35]
	v_mul_f64 v[148:149], v[44:45], s[20:21]
	v_mul_f64 v[152:153], v[44:45], s[24:25]
	v_mul_f64 v[44:45], v[44:45], s[28:29]
	v_add_f64 v[104:105], v[104:105], -v[112:113]
	v_add_f64 v[136:137], v[136:137], v[146:147]
	v_fma_f64 v[48:49], s[14:15], v[38:39], v[46:47]
	v_fma_f64 v[46:47], v[38:39], s[14:15], -v[46:47]
	v_fma_f64 v[124:125], s[12:13], v[38:39], v[52:53]
	v_fma_f64 v[52:53], v[38:39], s[12:13], -v[52:53]
	;; [unrolled: 2-line block ×6, first 2 shown]
	v_add_f64 v[44:45], v[106:107], v[122:123]
	v_mul_f64 v[106:107], v[104:105], s[30:31]
	v_add_f64 v[46:47], v[160:161], v[46:47]
	v_fma_f64 v[112:113], s[12:13], v[44:45], v[106:107]
	v_fma_f64 v[106:107], v[44:45], s[12:13], -v[106:107]
	v_add_f64 v[48:49], v[160:161], v[48:49]
	v_add_f64 v[46:47], v[106:107], v[46:47]
	v_mul_f64 v[106:107], v[104:105], s[20:21]
	v_add_f64 v[52:53], v[160:161], v[52:53]
	v_add_f64 v[48:49], v[112:113], v[48:49]
	v_fma_f64 v[112:113], s[18:19], v[44:45], v[106:107]
	v_fma_f64 v[106:107], v[44:45], s[18:19], -v[106:107]
	v_add_f64 v[124:125], v[160:161], v[124:125]
	v_add_f64 v[52:53], v[106:107], v[52:53]
	v_mul_f64 v[106:107], v[104:105], s[28:29]
	v_add_f64 v[146:147], v[160:161], v[146:147]
	v_add_f64 v[142:143], v[160:161], v[142:143]
	v_add_f64 v[112:113], v[112:113], v[124:125]
	v_fma_f64 v[122:123], s[26:27], v[44:45], v[106:107]
	v_fma_f64 v[106:107], v[44:45], s[26:27], -v[106:107]
	v_mul_f64 v[124:125], v[104:105], s[46:47]
	v_add_f64 v[150:151], v[160:161], v[150:151]
	v_add_f64 v[148:149], v[160:161], v[148:149]
	;; [unrolled: 1-line block ×4, first 2 shown]
	v_fma_f64 v[142:143], s[22:23], v[44:45], v[124:125]
	v_fma_f64 v[124:125], v[44:45], s[22:23], -v[124:125]
	v_mul_f64 v[146:147], v[104:105], s[38:39]
	v_mul_f64 v[104:105], v[104:105], s[40:41]
	v_add_f64 v[38:39], v[160:161], v[38:39]
	v_add_f64 v[142:143], v[142:143], v[150:151]
	;; [unrolled: 1-line block ×3, first 2 shown]
	v_fma_f64 v[148:149], s[8:9], v[44:45], v[146:147]
	v_fma_f64 v[146:147], v[44:45], s[8:9], -v[146:147]
	v_fma_f64 v[150:151], s[14:15], v[44:45], v[104:105]
	v_fma_f64 v[44:45], v[44:45], s[14:15], -v[104:105]
	v_add_f64 v[96:97], v[96:97], -v[108:109]
	v_add_f64 v[38:39], v[44:45], v[38:39]
	v_add_f64 v[44:45], v[98:99], v[110:111]
	v_mul_f64 v[98:99], v[96:97], s[34:35]
	v_fma_f64 v[104:105], s[8:9], v[44:45], v[98:99]
	v_fma_f64 v[98:99], v[44:45], s[8:9], -v[98:99]
	v_add_f64 v[46:47], v[98:99], v[46:47]
	v_mul_f64 v[98:99], v[96:97], s[28:29]
	v_add_f64 v[48:49], v[104:105], v[48:49]
	v_fma_f64 v[104:105], s[26:27], v[44:45], v[98:99]
	v_fma_f64 v[98:99], v[44:45], s[26:27], -v[98:99]
	v_add_f64 v[52:53], v[98:99], v[52:53]
	v_mul_f64 v[98:99], v[96:97], s[48:49]
	v_fma_f64 v[108:109], s[18:19], v[44:45], v[98:99]
	v_fma_f64 v[98:99], v[44:45], s[18:19], -v[98:99]
	v_add_f64 v[98:99], v[98:99], v[106:107]
	v_mul_f64 v[106:107], v[96:97], s[40:41]
	v_add_f64 v[104:105], v[104:105], v[112:113]
	v_fma_f64 v[110:111], s[14:15], v[44:45], v[106:107]
	v_fma_f64 v[106:107], v[44:45], s[14:15], -v[106:107]
	v_mul_f64 v[112:113], v[96:97], s[30:31]
	v_mul_f64 v[96:97], v[96:97], s[24:25]
	v_add_f64 v[108:109], v[108:109], v[122:123]
	v_add_f64 v[106:107], v[106:107], v[124:125]
	v_fma_f64 v[122:123], s[12:13], v[44:45], v[112:113]
	v_fma_f64 v[112:113], v[44:45], s[12:13], -v[112:113]
	v_fma_f64 v[124:125], s[22:23], v[44:45], v[96:97]
	v_fma_f64 v[44:45], v[44:45], s[22:23], -v[96:97]
	v_add_f64 v[78:79], v[78:79], -v[100:101]
	v_add_f64 v[38:39], v[44:45], v[38:39]
	v_add_f64 v[44:45], v[94:95], v[102:103]
	v_mul_f64 v[94:95], v[78:79], s[20:21]
	v_fma_f64 v[96:97], s[18:19], v[44:45], v[94:95]
	v_fma_f64 v[94:95], v[44:45], s[18:19], -v[94:95]
	v_add_f64 v[46:47], v[94:95], v[46:47]
	v_mul_f64 v[94:95], v[78:79], s[46:47]
	v_add_f64 v[48:49], v[96:97], v[48:49]
	v_fma_f64 v[96:97], s[22:23], v[44:45], v[94:95]
	v_fma_f64 v[94:95], v[44:45], s[22:23], -v[94:95]
	v_add_f64 v[52:53], v[94:95], v[52:53]
	v_mul_f64 v[94:95], v[78:79], s[40:41]
	v_fma_f64 v[100:101], s[14:15], v[44:45], v[94:95]
	v_fma_f64 v[94:95], v[44:45], s[14:15], -v[94:95]
	v_add_f64 v[94:95], v[94:95], v[98:99]
	v_mul_f64 v[98:99], v[78:79], s[34:35]
	v_add_f64 v[96:97], v[96:97], v[104:105]
	v_fma_f64 v[102:103], s[8:9], v[44:45], v[98:99]
	v_fma_f64 v[98:99], v[44:45], s[8:9], -v[98:99]
	v_mul_f64 v[104:105], v[78:79], s[44:45]
	v_mul_f64 v[78:79], v[78:79], s[42:43]
	v_add_f64 v[100:101], v[100:101], v[108:109]
	v_add_f64 v[98:99], v[98:99], v[106:107]
	v_fma_f64 v[106:107], s[26:27], v[44:45], v[104:105]
	v_fma_f64 v[104:105], v[44:45], s[26:27], -v[104:105]
	v_fma_f64 v[108:109], s[12:13], v[44:45], v[78:79]
	v_fma_f64 v[44:45], v[44:45], s[12:13], -v[78:79]
	v_add_f64 v[68:69], v[74:75], -v[68:69]
	v_add_f64 v[38:39], v[44:45], v[38:39]
	v_add_f64 v[44:45], v[76:77], v[70:71]
	v_mul_f64 v[70:71], v[68:69], s[24:25]
	v_fma_f64 v[74:75], s[22:23], v[44:45], v[70:71]
	v_fma_f64 v[70:71], v[44:45], s[22:23], -v[70:71]
	v_add_f64 v[46:47], v[70:71], v[46:47]
	v_mul_f64 v[70:71], v[68:69], s[38:39]
	v_add_f64 v[48:49], v[74:75], v[48:49]
	v_fma_f64 v[74:75], s[8:9], v[44:45], v[70:71]
	v_fma_f64 v[70:71], v[44:45], s[8:9], -v[70:71]
	v_add_f64 v[52:53], v[70:71], v[52:53]
	v_mul_f64 v[70:71], v[68:69], s[30:31]
	v_fma_f64 v[76:77], s[12:13], v[44:45], v[70:71]
	v_fma_f64 v[70:71], v[44:45], s[12:13], -v[70:71]
	v_mul_f64 v[78:79], v[68:69], s[44:45]
	v_add_f64 v[74:75], v[74:75], v[96:97]
	v_add_f64 v[70:71], v[70:71], v[94:95]
	v_fma_f64 v[94:95], s[26:27], v[44:45], v[78:79]
	v_fma_f64 v[78:79], v[44:45], s[26:27], -v[78:79]
	v_mul_f64 v[96:97], v[68:69], s[40:41]
	v_mul_f64 v[68:69], v[68:69], s[20:21]
	v_add_f64 v[162:163], v[160:161], v[162:163]
	v_add_f64 v[76:77], v[76:77], v[100:101]
	;; [unrolled: 1-line block ×3, first 2 shown]
	v_fma_f64 v[98:99], s[14:15], v[44:45], v[96:97]
	v_fma_f64 v[96:97], v[44:45], s[14:15], -v[96:97]
	v_fma_f64 v[100:101], s[18:19], v[44:45], v[68:69]
	v_fma_f64 v[44:45], v[44:45], s[18:19], -v[68:69]
	v_add_f64 v[60:61], v[64:65], -v[60:61]
	v_add_f64 v[148:149], v[148:149], v[162:163]
	v_add_f64 v[38:39], v[44:45], v[38:39]
	;; [unrolled: 1-line block ×3, first 2 shown]
	v_mul_f64 v[62:63], v[60:61], s[28:29]
	v_add_f64 v[164:165], v[160:161], v[164:165]
	v_add_f64 v[122:123], v[122:123], v[148:149]
	v_fma_f64 v[64:65], s[26:27], v[44:45], v[62:63]
	v_fma_f64 v[62:63], v[44:45], s[26:27], -v[62:63]
	v_add_f64 v[152:153], v[160:161], v[152:153]
	v_add_f64 v[150:151], v[150:151], v[164:165]
	;; [unrolled: 1-line block ×4, first 2 shown]
	v_mul_f64 v[46:47], v[60:61], s[40:41]
	v_add_f64 v[146:147], v[146:147], v[152:153]
	v_add_f64 v[124:125], v[124:125], v[150:151]
	v_fma_f64 v[62:63], s[14:15], v[44:45], v[46:47]
	v_fma_f64 v[46:47], v[44:45], s[14:15], -v[46:47]
	v_add_f64 v[110:111], v[110:111], v[142:143]
	v_add_f64 v[112:113], v[112:113], v[146:147]
	;; [unrolled: 1-line block ×4, first 2 shown]
	v_mul_f64 v[46:47], v[60:61], s[24:25]
	v_add_f64 v[102:103], v[102:103], v[110:111]
	v_add_f64 v[104:105], v[104:105], v[112:113]
	v_add_f64 v[48:49], v[64:65], v[48:49]
	v_fma_f64 v[52:53], s[22:23], v[44:45], v[46:47]
	v_fma_f64 v[46:47], v[44:45], s[22:23], -v[46:47]
	v_mul_f64 v[64:65], v[60:61], s[42:43]
	v_mul_f64 v[68:69], v[60:61], s[20:21]
	;; [unrolled: 1-line block ×3, first 2 shown]
	v_add_f64 v[94:95], v[94:95], v[102:103]
	v_add_f64 v[98:99], v[98:99], v[106:107]
	;; [unrolled: 1-line block ×6, first 2 shown]
	v_fma_f64 v[66:67], s[12:13], v[44:45], v[64:65]
	v_fma_f64 v[64:65], v[44:45], s[12:13], -v[64:65]
	v_fma_f64 v[70:71], s[18:19], v[44:45], v[68:69]
	v_fma_f64 v[68:69], v[44:45], s[18:19], -v[68:69]
	;; [unrolled: 2-line block ×3, first 2 shown]
	v_add_f64 v[52:53], v[52:53], v[76:77]
	v_add_f64 v[66:67], v[66:67], v[94:95]
	;; [unrolled: 1-line block ×7, first 2 shown]
	s_waitcnt lgkmcnt(0)
	; wave barrier
	s_waitcnt lgkmcnt(0)
	ds_write2_b64 v42, v[36:37], v[82:83] offset1:26
	ds_write2_b64 v42, v[90:91], v[126:127] offset0:52 offset1:78
	ds_write2_b64 v42, v[132:133], v[136:137] offset0:104 offset1:130
	;; [unrolled: 1-line block ×5, first 2 shown]
	ds_write_b64 v42, v[54:55] offset:2496
	ds_write2_b64 v56, v[50:51], v[48:49] offset1:26
	ds_write2_b64 v56, v[62:63], v[52:53] offset0:52 offset1:78
	ds_write2_b64 v56, v[66:67], v[70:71] offset0:104 offset1:130
	ds_write2_b64 v56, v[74:75], v[38:39] offset0:156 offset1:182
	ds_write2_b64 v56, v[68:69], v[64:65] offset0:208 offset1:234
	ds_write2_b64 v57, v[46:47], v[124:125] offset0:4 offset1:30
	ds_write_b64 v56, v[122:123] offset:2496
	v_add_u32_e32 v48, v187, v73
	v_add_u32_e32 v49, v188, v72
	s_waitcnt lgkmcnt(0)
	; wave barrier
	s_waitcnt lgkmcnt(0)
	ds_read2_b64 v[40:43], v195 offset0:82 offset1:134
	ds_read2_b64 v[44:47], v190 offset0:164 offset1:216
	;; [unrolled: 1-line block ×6, first 2 shown]
	ds_read_b64 v[140:141], v48
	ds_read_b64 v[92:93], v49
	ds_read2_b64 v[72:75], v190 offset0:34 offset1:86
	ds_read2_b64 v[48:51], v191 offset0:116 offset1:168
	;; [unrolled: 1-line block ×3, first 2 shown]
	ds_read_b64 v[136:137], v189
	ds_read_b64 v[138:139], v193
	ds_read_b64 v[142:143], v58
	ds_read_b64 v[146:147], v59
                                        ; implicit-def: $vgpr126_vgpr127
                                        ; implicit-def: $vgpr132_vgpr133
	s_and_saveexec_b64 s[2:3], s[0:1]
	s_cbranch_execz .LBB0_17
; %bb.16:
	ds_read_b64 v[122:123], v189 offset:5200
	ds_read_b64 v[126:127], v189 offset:7904
	ds_read_b64 v[124:125], v80
	ds_read_b64 v[132:133], v189 offset:10608
	v_mov_b32_e32 v174, v186
.LBB0_17:
	s_or_b64 exec, exec, s[2:3]
	s_and_saveexec_b64 s[0:1], vcc
	s_cbranch_execz .LBB0_20
; %bb.18:
	v_mul_i32_i24_e32 v134, 3, v185
	v_mov_b32_e32 v135, 0
	v_lshl_add_u64 v[52:53], v[134:135], 4, s[4:5]
	s_mov_b64 s[0:1], 0x1500
	v_lshl_add_u64 v[54:55], v[52:53], 0, s[0:1]
	v_add_co_u32_e32 v52, vcc, 0x1000, v52
	global_load_dwordx4 v[56:59], v[54:55], off offset:32
	global_load_dwordx4 v[80:83], v[54:55], off offset:16
	v_addc_co_u32_e32 v53, vcc, 0, v53, vcc
	v_mul_i32_i24_e32 v134, 3, v184
	s_movk_i32 s2, 0x1000
	global_load_dwordx4 v[52:55], v[52:53], off offset:1280
	v_lshl_add_u64 v[88:89], v[134:135], 4, s[4:5]
	v_lshl_add_u64 v[90:91], v[88:89], 0, s[0:1]
	v_add_co_u32_e32 v88, vcc, s2, v88
	v_mul_i32_i24_e32 v134, 3, v183
	s_nop 0
	v_addc_co_u32_e32 v89, vcc, 0, v89, vcc
	global_load_dwordx4 v[148:151], v[90:91], off offset:16
	global_load_dwordx4 v[160:163], v[88:89], off offset:1280
	;; [unrolled: 1-line block ×3, first 2 shown]
	v_lshl_add_u64 v[94:95], v[134:135], 4, s[4:5]
	v_lshl_add_u64 v[96:97], v[94:95], 0, s[0:1]
	v_add_co_u32_e32 v94, vcc, s2, v94
	v_mul_lo_u32 v88, s7, v130
	v_mul_lo_u32 v89, s6, v131
	v_mad_u64_u32 v[130:131], s[6:7], s6, v130, 0
	v_addc_co_u32_e32 v95, vcc, 0, v95, vcc
	v_add3_u32 v131, v131, v89, v88
	global_load_dwordx4 v[88:91], v[96:97], off offset:32
	global_load_dwordx4 v[98:101], v[96:97], off offset:16
	v_mul_i32_i24_e32 v134, 3, v182
	global_load_dwordx4 v[94:97], v[94:95], off offset:1280
	v_lshl_add_u64 v[102:103], v[134:135], 4, s[4:5]
	v_lshl_add_u64 v[110:111], v[102:103], 0, s[0:1]
	v_add_co_u32_e32 v102, vcc, s2, v102
	v_mul_i32_i24_e32 v134, 3, v181
	s_nop 0
	v_addc_co_u32_e32 v103, vcc, 0, v103, vcc
	global_load_dwordx4 v[102:105], v[102:103], off offset:1280
	s_nop 0
	global_load_dwordx4 v[106:109], v[110:111], off offset:32
	s_nop 0
	global_load_dwordx4 v[110:113], v[110:111], off offset:16
	s_mov_b32 s3, 0x60f25deb
	s_waitcnt vmcnt(11) lgkmcnt(4)
	v_mul_f64 v[168:169], v[78:79], v[58:59]
	s_waitcnt vmcnt(10)
	v_mul_f64 v[152:153], v[50:51], v[80:81]
	v_mul_f64 v[50:51], v[50:51], v[82:83]
	;; [unrolled: 1-line block ×3, first 2 shown]
	v_fmac_f64_e32 v[152:153], v[34:35], v[82:83]
	v_fma_f64 v[34:35], v[34:35], v[80:81], -v[50:51]
	s_waitcnt vmcnt(9)
	v_mul_f64 v[50:51], v[26:27], v[54:55]
	v_mul_f64 v[82:83], v[74:75], v[54:55]
	v_fma_f64 v[30:31], v[30:31], v[56:57], -v[168:169]
	v_fmac_f64_e32 v[58:59], v[78:79], v[56:57]
	v_fmac_f64_e32 v[50:51], v[74:75], v[52:53]
	v_fma_f64 v[26:27], v[26:27], v[52:53], -v[82:83]
	s_waitcnt vmcnt(8)
	v_mul_f64 v[54:55], v[48:49], v[148:149]
	s_waitcnt vmcnt(7)
	v_mul_f64 v[56:57], v[72:73], v[162:163]
	;; [unrolled: 2-line block ×3, first 2 shown]
	v_mul_f64 v[48:49], v[48:49], v[150:151]
	v_add_f64 v[34:35], v[86:87], -v[34:35]
	v_fma_f64 v[168:169], v[24:25], v[160:161], -v[56:57]
	v_add_f64 v[56:57], v[50:51], -v[58:59]
	v_fma_f64 v[52:53], v[28:29], v[164:165], -v[78:79]
	v_fma_f64 v[78:79], v[32:33], v[148:149], -v[48:49]
	v_add_f64 v[48:49], v[26:27], -v[30:31]
	v_add_f64 v[30:31], v[34:35], -v[56:57]
	v_fma_f64 v[82:83], v[86:87], 2.0, -v[34:35]
	v_add_f64 v[170:171], v[168:169], -v[52:53]
	v_fma_f64 v[52:53], v[34:35], 2.0, -v[30:31]
	v_add_f64 v[34:35], v[84:85], -v[78:79]
	v_mul_f64 v[78:79], v[24:25], v[162:163]
	v_mul_f64 v[24:25], v[28:29], v[166:167]
	v_fmac_f64_e32 v[54:55], v[32:33], v[150:151]
	v_fmac_f64_e32 v[78:79], v[72:73], v[160:161]
	;; [unrolled: 1-line block ×3, first 2 shown]
	v_lshl_add_u64 v[72:73], v[134:135], 4, s[4:5]
	s_waitcnt lgkmcnt(0)
	v_add_f64 v[80:81], v[146:147], -v[152:153]
	v_add_f64 v[86:87], v[92:93], -v[54:55]
	;; [unrolled: 1-line block ×3, first 2 shown]
	v_lshl_add_u64 v[76:77], v[72:73], 0, s[0:1]
	v_add_co_u32_e32 v72, vcc, s2, v72
	v_fma_f64 v[58:59], v[146:147], 2.0, -v[80:81]
	v_add_f64 v[32:33], v[80:81], v[48:49]
	v_fma_f64 v[48:49], v[26:27], 2.0, -v[48:49]
	v_add_f64 v[24:25], v[34:35], -v[28:29]
	global_load_dwordx4 v[146:149], v[76:77], off offset:32
	global_load_dwordx4 v[150:153], v[76:77], off offset:16
	v_addc_co_u32_e32 v73, vcc, 0, v73, vcc
	v_fma_f64 v[76:77], v[92:93], 2.0, -v[86:87]
	v_fma_f64 v[28:29], v[78:79], 2.0, -v[28:29]
	v_add_f64 v[48:49], v[82:83], -v[48:49]
	global_load_dwordx4 v[160:163], v[72:73], off offset:1280
	v_fma_f64 v[72:73], v[34:35], 2.0, -v[24:25]
	v_add_f64 v[78:79], v[76:77], -v[28:29]
	v_fma_f64 v[28:29], v[84:85], 2.0, -v[34:35]
	v_fma_f64 v[34:35], v[168:169], 2.0, -v[170:171]
	v_fma_f64 v[50:51], v[50:51], 2.0, -v[56:57]
	v_fma_f64 v[56:57], v[82:83], 2.0, -v[48:49]
	v_fma_f64 v[82:83], v[76:77], 2.0, -v[78:79]
	v_add_f64 v[76:77], v[28:29], -v[34:35]
	s_waitcnt vmcnt(6)
	v_mul_f64 v[34:35], v[62:63], v[96:97]
	v_mul_f64 v[84:85], v[66:67], v[90:91]
	v_fma_f64 v[34:35], v[14:15], v[94:95], -v[34:35]
	v_fma_f64 v[84:85], v[18:19], v[88:89], -v[84:85]
	v_add_f64 v[172:173], v[34:35], -v[84:85]
	v_mul_u32_u24_e32 v84, 3, v180
	v_lshlrev_b32_e32 v134, 4, v84
	v_lshl_add_u64 v[84:85], s[4:5], 0, v[134:135]
	v_lshl_add_u64 v[176:177], v[84:85], 0, s[0:1]
	v_add_co_u32_e32 v84, vcc, s2, v84
	v_add_f64 v[26:27], v[86:87], v[170:171]
	s_nop 0
	v_addc_co_u32_e32 v85, vcc, 0, v85, vcc
	global_load_dwordx4 v[164:167], v[176:177], off offset:16
	global_load_dwordx4 v[168:171], v[84:85], off offset:1280
	v_fma_f64 v[54:55], v[80:81], 2.0, -v[32:33]
	global_load_dwordx4 v[176:179], v[176:177], off offset:32
	v_fma_f64 v[80:81], v[28:29], 2.0, -v[76:77]
	v_mul_f64 v[28:29], v[70:71], v[98:99]
	v_fmac_f64_e32 v[28:29], v[22:23], v[100:101]
	v_mul_f64 v[14:15], v[14:15], v[96:97]
	v_mul_f64 v[18:19], v[18:19], v[90:91]
	v_add_f64 v[28:29], v[142:143], -v[28:29]
	v_mul_f64 v[70:71], v[70:71], v[100:101]
	v_fmac_f64_e32 v[14:15], v[62:63], v[94:95]
	v_fmac_f64_e32 v[18:19], v[66:67], v[88:89]
	v_fma_f64 v[74:75], v[86:87], 2.0, -v[26:27]
	v_add_f64 v[86:87], v[28:29], v[172:173]
	v_fma_f64 v[22:23], v[22:23], v[98:99], -v[70:71]
	v_add_f64 v[18:19], v[14:15], -v[18:19]
	v_fma_f64 v[92:93], v[28:29], 2.0, -v[86:87]
	v_add_f64 v[22:23], v[158:159], -v[22:23]
	v_fma_f64 v[28:29], v[142:143], 2.0, -v[28:29]
	v_fma_f64 v[14:15], v[14:15], 2.0, -v[18:19]
	v_add_f64 v[84:85], v[22:23], -v[18:19]
	v_add_f64 v[96:97], v[28:29], -v[14:15]
	v_fma_f64 v[14:15], v[158:159], 2.0, -v[22:23]
	v_fma_f64 v[18:19], v[34:35], 2.0, -v[172:173]
	v_add_f64 v[94:95], v[14:15], -v[18:19]
	v_fma_f64 v[98:99], v[14:15], 2.0, -v[94:95]
	s_waitcnt vmcnt(6)
	v_mul_f64 v[14:15], v[68:69], v[110:111]
	v_fmac_f64_e32 v[14:15], v[20:21], v[112:113]
	v_fma_f64 v[90:91], v[22:23], 2.0, -v[84:85]
	v_add_f64 v[22:23], v[140:141], -v[14:15]
	v_mul_f64 v[14:15], v[60:61], v[104:105]
	v_fma_f64 v[100:101], v[28:29], 2.0, -v[96:97]
	v_fma_f64 v[28:29], v[12:13], v[102:103], -v[14:15]
	v_mul_f64 v[14:15], v[64:65], v[108:109]
	v_mul_f64 v[62:63], v[68:69], v[112:113]
	v_fma_f64 v[14:15], v[16:17], v[106:107], -v[14:15]
	v_fma_f64 v[20:21], v[20:21], v[110:111], -v[62:63]
	v_mul_f64 v[62:63], v[12:13], v[104:105]
	v_mul_f64 v[12:13], v[16:17], v[108:109]
	v_add_f64 v[34:35], v[28:29], -v[14:15]
	v_fmac_f64_e32 v[62:63], v[60:61], v[102:103]
	v_fmac_f64_e32 v[12:13], v[64:65], v[106:107]
	v_add_f64 v[14:15], v[22:23], v[34:35]
	v_add_f64 v[60:61], v[62:63], -v[12:13]
	v_fma_f64 v[18:19], v[22:23], 2.0, -v[14:15]
	v_add_f64 v[20:21], v[156:157], -v[20:21]
	v_fma_f64 v[64:65], v[140:141], 2.0, -v[22:23]
	v_fma_f64 v[22:23], v[62:63], 2.0, -v[60:61]
	v_add_f64 v[12:13], v[20:21], -v[60:61]
	v_add_f64 v[22:23], v[64:65], -v[22:23]
	v_fma_f64 v[16:17], v[20:21], 2.0, -v[12:13]
	v_fma_f64 v[62:63], v[64:65], 2.0, -v[22:23]
	;; [unrolled: 1-line block ×4, first 2 shown]
	s_waitcnt vmcnt(4)
	v_mul_f64 v[28:29], v[46:47], v[150:151]
	v_mul_f64 v[64:65], v[38:39], v[148:149]
	s_waitcnt vmcnt(3)
	v_mul_f64 v[34:35], v[42:43], v[162:163]
	v_fmac_f64_e32 v[28:29], v[10:11], v[152:153]
	v_fma_f64 v[34:35], v[6:7], v[160:161], -v[34:35]
	v_fma_f64 v[64:65], v[2:3], v[146:147], -v[64:65]
	v_mul_f64 v[46:47], v[46:47], v[152:153]
	v_mul_f64 v[6:7], v[6:7], v[162:163]
	;; [unrolled: 1-line block ×3, first 2 shown]
	v_add_f64 v[28:29], v[138:139], -v[28:29]
	v_add_f64 v[88:89], v[34:35], -v[64:65]
	v_fma_f64 v[10:11], v[10:11], v[150:151], -v[46:47]
	v_fmac_f64_e32 v[6:7], v[42:43], v[160:161]
	v_fmac_f64_e32 v[2:3], v[38:39], v[146:147]
	v_add_f64 v[66:67], v[28:29], v[88:89]
	v_add_f64 v[10:11], v[154:155], -v[10:11]
	v_add_f64 v[2:3], v[6:7], -v[2:3]
	v_fma_f64 v[70:71], v[28:29], 2.0, -v[66:67]
	v_add_f64 v[64:65], v[10:11], -v[2:3]
	v_fma_f64 v[28:29], v[138:139], 2.0, -v[28:29]
	v_fma_f64 v[2:3], v[6:7], 2.0, -v[2:3]
	v_add_f64 v[104:105], v[28:29], -v[2:3]
	v_fma_f64 v[2:3], v[154:155], 2.0, -v[10:11]
	;; [unrolled: 3-line block ×3, first 2 shown]
	s_waitcnt vmcnt(1)
	v_mul_f64 v[6:7], v[40:41], v[170:171]
	v_fma_f64 v[106:107], v[2:3], 2.0, -v[102:103]
	v_mul_f64 v[2:3], v[8:9], v[166:167]
	v_fma_f64 v[28:29], v[4:5], v[168:169], -v[6:7]
	s_waitcnt vmcnt(0)
	v_mul_f64 v[6:7], v[36:37], v[178:179]
	v_fmac_f64_e32 v[2:3], v[44:45], v[164:165]
	v_fma_f64 v[6:7], v[0:1], v[176:177], -v[6:7]
	v_mul_f64 v[38:39], v[44:45], v[166:167]
	v_mul_f64 v[42:43], v[4:5], v[170:171]
	;; [unrolled: 1-line block ×3, first 2 shown]
	v_add_f64 v[2:3], v[136:137], -v[2:3]
	v_add_f64 v[34:35], v[28:29], -v[6:7]
	v_fma_f64 v[8:9], v[8:9], v[164:165], -v[38:39]
	v_fmac_f64_e32 v[42:43], v[40:41], v[168:169]
	v_fmac_f64_e32 v[0:1], v[36:37], v[176:177]
	v_add_f64 v[6:7], v[2:3], v[34:35]
	v_add_f64 v[38:39], v[144:145], -v[8:9]
	v_add_f64 v[0:1], v[42:43], -v[0:1]
	v_fma_f64 v[68:69], v[10:11], 2.0, -v[64:65]
	v_fma_f64 v[10:11], v[2:3], 2.0, -v[6:7]
	v_add_f64 v[4:5], v[38:39], -v[0:1]
	v_fma_f64 v[2:3], v[136:137], 2.0, -v[2:3]
	v_fma_f64 v[0:1], v[42:43], 2.0, -v[0:1]
	;; [unrolled: 3-line block ×3, first 2 shown]
	v_fma_f64 v[2:3], v[28:29], 2.0, -v[34:35]
	v_add_f64 v[34:35], v[0:1], -v[2:3]
	v_fma_f64 v[8:9], v[38:39], 2.0, -v[4:5]
	v_fma_f64 v[38:39], v[0:1], 2.0, -v[34:35]
	v_mul_hi_u32 v0, v180, s3
	v_lshrrev_b32_e32 v0, 7, v0
	v_mul_u32_u24_e32 v0, 0x152, v0
	v_sub_u32_e32 v42, v180, v0
	v_mad_u64_u32 v[2:3], s[6:7], s16, v42, 0
	v_mov_b32_e32 v0, v3
	v_mad_u64_u32 v[0:1], s[6:7], s17, v42, v[0:1]
	v_mov_b32_e32 v3, v0
	v_lshl_add_u64 v[0:1], v[130:131], 4, s[10:11]
	v_lshl_add_u64 v[0:1], v[128:129], 4, v[0:1]
	;; [unrolled: 1-line block ×3, first 2 shown]
	v_add_u32_e32 v29, 0x152, v42
	global_store_dwordx4 v[2:3], v[38:41], off
	v_mad_u64_u32 v[2:3], s[6:7], s16, v29, 0
	v_mov_b32_e32 v28, v3
	v_mad_u64_u32 v[28:29], s[6:7], s17, v29, v[28:29]
	v_mov_b32_e32 v3, v28
	v_lshl_add_u64 v[2:3], v[2:3], 4, v[0:1]
	global_store_dwordx4 v[2:3], v[8:11], off
	v_add_f64 v[20:21], v[60:61], -v[20:21]
	v_fma_f64 v[60:61], v[60:61], 2.0, -v[20:21]
	v_add_u32_e32 v9, 0x2a4, v42
	v_mad_u64_u32 v[2:3], s[6:7], s16, v9, 0
	v_mov_b32_e32 v8, v3
	v_mad_u64_u32 v[8:9], s[6:7], s17, v9, v[8:9]
	v_mov_b32_e32 v3, v8
	v_lshl_add_u64 v[2:3], v[2:3], 4, v[0:1]
	v_add_u32_e32 v9, 0x3f6, v42
	global_store_dwordx4 v[2:3], v[34:37], off
	v_mad_u64_u32 v[2:3], s[6:7], s16, v9, 0
	v_mov_b32_e32 v8, v3
	v_mad_u64_u32 v[8:9], s[6:7], s17, v9, v[8:9]
	v_mov_b32_e32 v3, v8
	v_lshl_add_u64 v[2:3], v[2:3], 4, v[0:1]
	global_store_dwordx4 v[2:3], v[4:7], off
	v_add_u32_e32 v2, 52, v180
	v_mul_hi_u32 v3, v2, s3
	v_lshrrev_b32_e32 v3, 7, v3
	v_mul_u32_u24_e32 v4, 0x152, v3
	v_sub_u32_e32 v2, v2, v4
	s_movk_i32 s6, 0x548
	v_mad_u32_u24 v6, v3, s6, v2
	v_mad_u64_u32 v[2:3], s[8:9], s16, v6, 0
	v_mov_b32_e32 v4, v3
	v_mad_u64_u32 v[4:5], s[8:9], s17, v6, v[4:5]
	v_mov_b32_e32 v3, v4
	v_lshl_add_u64 v[2:3], v[2:3], 4, v[0:1]
	v_add_u32_e32 v5, 0x152, v6
	global_store_dwordx4 v[2:3], v[106:109], off
	v_mad_u64_u32 v[2:3], s[8:9], s16, v5, 0
	v_mov_b32_e32 v4, v3
	v_mad_u64_u32 v[4:5], s[8:9], s17, v5, v[4:5]
	v_mov_b32_e32 v3, v4
	v_lshl_add_u64 v[2:3], v[2:3], 4, v[0:1]
	v_add_u32_e32 v5, 0x2a4, v6
	global_store_dwordx4 v[2:3], v[68:71], off
	v_mad_u64_u32 v[2:3], s[8:9], s16, v5, 0
	v_mov_b32_e32 v4, v3
	v_mad_u64_u32 v[4:5], s[8:9], s17, v5, v[4:5]
	v_mov_b32_e32 v3, v4
	v_lshl_add_u64 v[2:3], v[2:3], 4, v[0:1]
	v_add_u32_e32 v5, 0x3f6, v6
	global_store_dwordx4 v[2:3], v[102:105], off
	v_mad_u64_u32 v[2:3], s[8:9], s16, v5, 0
	v_mov_b32_e32 v4, v3
	v_mad_u64_u32 v[4:5], s[8:9], s17, v5, v[4:5]
	v_mov_b32_e32 v3, v4
	v_lshl_add_u64 v[2:3], v[2:3], 4, v[0:1]
	global_store_dwordx4 v[2:3], v[64:67], off
	v_add_u32_e32 v2, 0x68, v180
	v_mul_hi_u32 v3, v2, s3
	v_lshrrev_b32_e32 v3, 7, v3
	v_mul_u32_u24_e32 v4, 0x152, v3
	v_sub_u32_e32 v2, v2, v4
	v_mad_u32_u24 v6, v3, s6, v2
	v_mad_u64_u32 v[2:3], s[8:9], s16, v6, 0
	v_mov_b32_e32 v4, v3
	v_mad_u64_u32 v[4:5], s[8:9], s17, v6, v[4:5]
	v_mov_b32_e32 v3, v4
	v_lshl_add_u64 v[2:3], v[2:3], 4, v[0:1]
	v_add_u32_e32 v5, 0x152, v6
	global_store_dwordx4 v[2:3], v[60:63], off
	v_mad_u64_u32 v[2:3], s[8:9], s16, v5, 0
	v_mov_b32_e32 v4, v3
	v_mad_u64_u32 v[4:5], s[8:9], s17, v5, v[4:5]
	v_mov_b32_e32 v3, v4
	v_lshl_add_u64 v[2:3], v[2:3], 4, v[0:1]
	v_add_u32_e32 v5, 0x2a4, v6
	global_store_dwordx4 v[2:3], v[16:19], off
	v_mad_u64_u32 v[2:3], s[8:9], s16, v5, 0
	v_mov_b32_e32 v4, v3
	v_mad_u64_u32 v[4:5], s[8:9], s17, v5, v[4:5]
	v_mov_b32_e32 v3, v4
	v_lshl_add_u64 v[2:3], v[2:3], 4, v[0:1]
	v_add_u32_e32 v5, 0x3f6, v6
	global_store_dwordx4 v[2:3], v[20:23], off
	v_mad_u64_u32 v[2:3], s[8:9], s16, v5, 0
	v_mov_b32_e32 v4, v3
	v_mad_u64_u32 v[4:5], s[8:9], s17, v5, v[4:5]
	v_mov_b32_e32 v3, v4
	v_lshl_add_u64 v[2:3], v[2:3], 4, v[0:1]
	global_store_dwordx4 v[2:3], v[12:15], off
	v_add_u32_e32 v2, 0x9c, v180
	v_mul_hi_u32 v3, v2, s3
	v_lshrrev_b32_e32 v3, 7, v3
	v_mul_u32_u24_e32 v4, 0x152, v3
	v_sub_u32_e32 v2, v2, v4
	;; [unrolled: 33-line block ×4, first 2 shown]
	v_mad_u32_u24 v6, v3, s6, v2
	v_mad_u64_u32 v[2:3], s[6:7], s16, v6, 0
	v_mov_b32_e32 v4, v3
	v_mad_u64_u32 v[4:5], s[6:7], s17, v6, v[4:5]
	v_add_f64 v[50:51], v[58:59], -v[50:51]
	v_mov_b32_e32 v3, v4
	v_fma_f64 v[58:59], v[58:59], 2.0, -v[50:51]
	v_lshl_add_u64 v[2:3], v[2:3], 4, v[0:1]
	v_add_u32_e32 v5, 0x152, v6
	global_store_dwordx4 v[2:3], v[56:59], off
	v_mad_u64_u32 v[2:3], s[6:7], s16, v5, 0
	v_mov_b32_e32 v4, v3
	v_mad_u64_u32 v[4:5], s[6:7], s17, v5, v[4:5]
	v_mov_b32_e32 v3, v4
	v_lshl_add_u64 v[2:3], v[2:3], 4, v[0:1]
	v_add_u32_e32 v5, 0x2a4, v6
	global_store_dwordx4 v[2:3], v[52:55], off
	v_mad_u64_u32 v[2:3], s[6:7], s16, v5, 0
	v_mov_b32_e32 v4, v3
	v_mad_u64_u32 v[4:5], s[6:7], s17, v5, v[4:5]
	v_mov_b32_e32 v3, v4
	;; [unrolled: 7-line block ×3, first 2 shown]
	v_lshl_add_u64 v[2:3], v[2:3], 4, v[0:1]
	s_movk_i32 s2, 0x152
	global_store_dwordx4 v[2:3], v[30:33], off
	v_add_u32_e32 v2, 0x138, v180
	v_cmp_gt_u32_e32 vcc, s2, v2
	s_and_b64 exec, exec, vcc
	s_cbranch_execz .LBB0_20
; %bb.19:
	v_mul_i32_i24_e32 v134, 3, v174
	v_lshl_add_u64 v[12:13], v[134:135], 4, s[4:5]
	v_lshl_add_u64 v[14:15], v[12:13], 0, s[0:1]
	v_add_co_u32_e32 v12, vcc, 0x1000, v12
	global_load_dwordx4 v[4:7], v[14:15], off offset:32
	global_load_dwordx4 v[8:11], v[14:15], off offset:16
	v_addc_co_u32_e32 v13, vcc, 0, v13, vcc
	global_load_dwordx4 v[12:15], v[12:13], off offset:1280
	v_mad_u64_u32 v[16:17], s[0:1], s16, v2, 0
	v_add_u32_e32 v19, 0x28a, v180
	v_add_u32_e32 v27, 0x3dc, v180
	;; [unrolled: 1-line block ×3, first 2 shown]
	v_mov_b32_e32 v18, v17
	v_mad_u64_u32 v[20:21], s[0:1], s16, v19, 0
	v_mad_u64_u32 v[22:23], s[0:1], s16, v27, 0
	;; [unrolled: 1-line block ×4, first 2 shown]
	v_mov_b32_e32 v18, v21
	v_mov_b32_e32 v26, v23
	;; [unrolled: 1-line block ×4, first 2 shown]
	v_mad_u64_u32 v[2:3], s[0:1], s17, v19, v[18:19]
	v_mad_u64_u32 v[18:19], s[0:1], s17, v27, v[26:27]
	;; [unrolled: 1-line block ×3, first 2 shown]
	v_mov_b32_e32 v21, v2
	v_mov_b32_e32 v23, v18
	;; [unrolled: 1-line block ×3, first 2 shown]
	v_lshl_add_u64 v[16:17], v[16:17], 4, v[0:1]
	v_lshl_add_u64 v[18:19], v[20:21], 4, v[0:1]
	;; [unrolled: 1-line block ×4, first 2 shown]
	s_waitcnt vmcnt(1)
	v_mul_f64 v[0:1], v[126:127], v[10:11]
	v_mul_f64 v[2:3], v[118:119], v[10:11]
	;; [unrolled: 1-line block ×4, first 2 shown]
	s_waitcnt vmcnt(0)
	v_mul_f64 v[24:25], v[122:123], v[14:15]
	v_mul_f64 v[14:15], v[114:115], v[14:15]
	v_fma_f64 v[0:1], v[118:119], v[8:9], -v[0:1]
	v_fmac_f64_e32 v[2:3], v[126:127], v[8:9]
	v_fma_f64 v[8:9], v[120:121], v[4:5], -v[10:11]
	v_fmac_f64_e32 v[6:7], v[132:133], v[4:5]
	;; [unrolled: 2-line block ×3, first 2 shown]
	v_add_f64 v[10:11], v[116:117], -v[0:1]
	v_add_f64 v[12:13], v[124:125], -v[2:3]
	;; [unrolled: 1-line block ×4, first 2 shown]
	v_fma_f64 v[24:25], v[116:117], 2.0, -v[10:11]
	v_fma_f64 v[26:27], v[124:125], 2.0, -v[12:13]
	v_fma_f64 v[4:5], v[4:5], 2.0, -v[2:3]
	v_fma_f64 v[6:7], v[14:15], 2.0, -v[0:1]
	v_add_f64 v[0:1], v[10:11], -v[0:1]
	v_add_f64 v[2:3], v[12:13], v[2:3]
	v_add_f64 v[4:5], v[24:25], -v[4:5]
	v_add_f64 v[6:7], v[26:27], -v[6:7]
	v_fma_f64 v[8:9], v[10:11], 2.0, -v[0:1]
	v_fma_f64 v[10:11], v[12:13], 2.0, -v[2:3]
	;; [unrolled: 1-line block ×4, first 2 shown]
	global_store_dwordx4 v[16:17], v[12:15], off
	global_store_dwordx4 v[18:19], v[8:11], off
	;; [unrolled: 1-line block ×4, first 2 shown]
.LBB0_20:
	s_endpgm
	.section	.rodata,"a",@progbits
	.p2align	6, 0x0
	.amdhsa_kernel fft_rtc_fwd_len1352_factors_2_13_13_4_wgs_52_tpt_52_halfLds_dp_op_CI_CI_sbrr_dirReg
		.amdhsa_group_segment_fixed_size 0
		.amdhsa_private_segment_fixed_size 0
		.amdhsa_kernarg_size 104
		.amdhsa_user_sgpr_count 2
		.amdhsa_user_sgpr_dispatch_ptr 0
		.amdhsa_user_sgpr_queue_ptr 0
		.amdhsa_user_sgpr_kernarg_segment_ptr 1
		.amdhsa_user_sgpr_dispatch_id 0
		.amdhsa_user_sgpr_kernarg_preload_length 0
		.amdhsa_user_sgpr_kernarg_preload_offset 0
		.amdhsa_user_sgpr_private_segment_size 0
		.amdhsa_uses_dynamic_stack 0
		.amdhsa_enable_private_segment 0
		.amdhsa_system_sgpr_workgroup_id_x 1
		.amdhsa_system_sgpr_workgroup_id_y 0
		.amdhsa_system_sgpr_workgroup_id_z 0
		.amdhsa_system_sgpr_workgroup_info 0
		.amdhsa_system_vgpr_workitem_id 0
		.amdhsa_next_free_vgpr 246
		.amdhsa_next_free_sgpr 50
		.amdhsa_accum_offset 248
		.amdhsa_reserve_vcc 1
		.amdhsa_float_round_mode_32 0
		.amdhsa_float_round_mode_16_64 0
		.amdhsa_float_denorm_mode_32 3
		.amdhsa_float_denorm_mode_16_64 3
		.amdhsa_dx10_clamp 1
		.amdhsa_ieee_mode 1
		.amdhsa_fp16_overflow 0
		.amdhsa_tg_split 0
		.amdhsa_exception_fp_ieee_invalid_op 0
		.amdhsa_exception_fp_denorm_src 0
		.amdhsa_exception_fp_ieee_div_zero 0
		.amdhsa_exception_fp_ieee_overflow 0
		.amdhsa_exception_fp_ieee_underflow 0
		.amdhsa_exception_fp_ieee_inexact 0
		.amdhsa_exception_int_div_zero 0
	.end_amdhsa_kernel
	.text
.Lfunc_end0:
	.size	fft_rtc_fwd_len1352_factors_2_13_13_4_wgs_52_tpt_52_halfLds_dp_op_CI_CI_sbrr_dirReg, .Lfunc_end0-fft_rtc_fwd_len1352_factors_2_13_13_4_wgs_52_tpt_52_halfLds_dp_op_CI_CI_sbrr_dirReg
                                        ; -- End function
	.section	.AMDGPU.csdata,"",@progbits
; Kernel info:
; codeLenInByte = 23324
; NumSgprs: 56
; NumVgprs: 246
; NumAgprs: 0
; TotalNumVgprs: 246
; ScratchSize: 0
; MemoryBound: 1
; FloatMode: 240
; IeeeMode: 1
; LDSByteSize: 0 bytes/workgroup (compile time only)
; SGPRBlocks: 6
; VGPRBlocks: 30
; NumSGPRsForWavesPerEU: 56
; NumVGPRsForWavesPerEU: 246
; AccumOffset: 248
; Occupancy: 2
; WaveLimiterHint : 1
; COMPUTE_PGM_RSRC2:SCRATCH_EN: 0
; COMPUTE_PGM_RSRC2:USER_SGPR: 2
; COMPUTE_PGM_RSRC2:TRAP_HANDLER: 0
; COMPUTE_PGM_RSRC2:TGID_X_EN: 1
; COMPUTE_PGM_RSRC2:TGID_Y_EN: 0
; COMPUTE_PGM_RSRC2:TGID_Z_EN: 0
; COMPUTE_PGM_RSRC2:TIDIG_COMP_CNT: 0
; COMPUTE_PGM_RSRC3_GFX90A:ACCUM_OFFSET: 61
; COMPUTE_PGM_RSRC3_GFX90A:TG_SPLIT: 0
	.text
	.p2alignl 6, 3212836864
	.fill 256, 4, 3212836864
	.type	__hip_cuid_ab37ae30452dff17,@object ; @__hip_cuid_ab37ae30452dff17
	.section	.bss,"aw",@nobits
	.globl	__hip_cuid_ab37ae30452dff17
__hip_cuid_ab37ae30452dff17:
	.byte	0                               ; 0x0
	.size	__hip_cuid_ab37ae30452dff17, 1

	.ident	"AMD clang version 19.0.0git (https://github.com/RadeonOpenCompute/llvm-project roc-6.4.0 25133 c7fe45cf4b819c5991fe208aaa96edf142730f1d)"
	.section	".note.GNU-stack","",@progbits
	.addrsig
	.addrsig_sym __hip_cuid_ab37ae30452dff17
	.amdgpu_metadata
---
amdhsa.kernels:
  - .agpr_count:     0
    .args:
      - .actual_access:  read_only
        .address_space:  global
        .offset:         0
        .size:           8
        .value_kind:     global_buffer
      - .offset:         8
        .size:           8
        .value_kind:     by_value
      - .actual_access:  read_only
        .address_space:  global
        .offset:         16
        .size:           8
        .value_kind:     global_buffer
      - .actual_access:  read_only
        .address_space:  global
        .offset:         24
        .size:           8
        .value_kind:     global_buffer
      - .actual_access:  read_only
        .address_space:  global
        .offset:         32
        .size:           8
        .value_kind:     global_buffer
      - .offset:         40
        .size:           8
        .value_kind:     by_value
      - .actual_access:  read_only
        .address_space:  global
        .offset:         48
        .size:           8
        .value_kind:     global_buffer
      - .actual_access:  read_only
        .address_space:  global
        .offset:         56
        .size:           8
        .value_kind:     global_buffer
      - .offset:         64
        .size:           4
        .value_kind:     by_value
      - .actual_access:  read_only
        .address_space:  global
        .offset:         72
        .size:           8
        .value_kind:     global_buffer
      - .actual_access:  read_only
        .address_space:  global
        .offset:         80
        .size:           8
        .value_kind:     global_buffer
      - .actual_access:  read_only
        .address_space:  global
        .offset:         88
        .size:           8
        .value_kind:     global_buffer
      - .actual_access:  write_only
        .address_space:  global
        .offset:         96
        .size:           8
        .value_kind:     global_buffer
    .group_segment_fixed_size: 0
    .kernarg_segment_align: 8
    .kernarg_segment_size: 104
    .language:       OpenCL C
    .language_version:
      - 2
      - 0
    .max_flat_workgroup_size: 52
    .name:           fft_rtc_fwd_len1352_factors_2_13_13_4_wgs_52_tpt_52_halfLds_dp_op_CI_CI_sbrr_dirReg
    .private_segment_fixed_size: 0
    .sgpr_count:     56
    .sgpr_spill_count: 0
    .symbol:         fft_rtc_fwd_len1352_factors_2_13_13_4_wgs_52_tpt_52_halfLds_dp_op_CI_CI_sbrr_dirReg.kd
    .uniform_work_group_size: 1
    .uses_dynamic_stack: false
    .vgpr_count:     246
    .vgpr_spill_count: 0
    .wavefront_size: 64
amdhsa.target:   amdgcn-amd-amdhsa--gfx950
amdhsa.version:
  - 1
  - 2
...

	.end_amdgpu_metadata
